;; amdgpu-corpus repo=ROCm/rocFFT kind=compiled arch=gfx1030 opt=O3
	.text
	.amdgcn_target "amdgcn-amd-amdhsa--gfx1030"
	.amdhsa_code_object_version 6
	.protected	bluestein_single_back_len2250_dim1_sp_op_CI_CI ; -- Begin function bluestein_single_back_len2250_dim1_sp_op_CI_CI
	.globl	bluestein_single_back_len2250_dim1_sp_op_CI_CI
	.p2align	8
	.type	bluestein_single_back_len2250_dim1_sp_op_CI_CI,@function
bluestein_single_back_len2250_dim1_sp_op_CI_CI: ; @bluestein_single_back_len2250_dim1_sp_op_CI_CI
; %bb.0:
	s_load_dwordx4 s[8:11], s[4:5], 0x28
	v_mul_u32_u24_e32 v1, 0x2d9, v0
	s_mov_b64 s[18:19], s[2:3]
	s_mov_b64 s[16:17], s[0:1]
	v_mov_b32_e32 v6, 0
	s_add_u32 s16, s16, s7
	v_lshrrev_b32_e32 v1, 16, v1
	s_addc_u32 s17, s17, 0
	s_mov_b32 s0, exec_lo
	v_add_nc_u32_e32 v5, s6, v1
	s_waitcnt lgkmcnt(0)
	v_cmpx_gt_u64_e64 s[8:9], v[5:6]
	s_cbranch_execz .LBB0_31
; %bb.1:
	s_clause 0x1
	s_load_dwordx4 s[0:3], s[4:5], 0x18
	s_load_dwordx2 s[6:7], s[4:5], 0x0
	v_mul_lo_u16 v1, 0x5a, v1
	v_mov_b32_e32 v6, v5
	v_sub_nc_u16 v2, v0, v1
	v_and_b32_e32 v237, 0xffff, v2
	v_lshlrev_b32_e32 v236, 3, v237
	s_waitcnt lgkmcnt(0)
	s_load_dwordx4 s[12:15], s[0:1], 0x0
	s_clause 0x1
	global_load_dwordx2 v[252:253], v236, s[6:7]
	global_load_dwordx2 v[250:251], v236, s[6:7] offset:1800
	v_add_co_u32 v238, s0, s6, v236
	v_add_co_ci_u32_e64 v239, null, s7, 0, s0
	v_add_co_u32 v29, vcc_lo, 0x800, v238
	v_add_co_ci_u32_e32 v30, vcc_lo, 0, v239, vcc_lo
	v_add_co_u32 v35, vcc_lo, 0x1000, v238
	v_add_co_ci_u32_e32 v36, vcc_lo, 0, v239, vcc_lo
	global_load_dwordx2 v[234:235], v[29:30], off offset:1552
	buffer_store_dword v6, off, s[16:19], 0 offset:160 ; 4-byte Folded Spill
	buffer_store_dword v7, off, s[16:19], 0 offset:164 ; 4-byte Folded Spill
	v_add_co_u32 v33, vcc_lo, 0x1800, v238
	s_waitcnt lgkmcnt(0)
	v_mad_u64_u32 v[0:1], null, s14, v5, 0
	v_mad_u64_u32 v[3:4], null, s12, v237, 0
	v_add_co_ci_u32_e32 v34, vcc_lo, 0, v239, vcc_lo
	v_add_co_u32 v43, vcc_lo, 0x2000, v238
	v_mad_u64_u32 v[5:6], null, s15, v5, v[1:2]
	v_add_co_ci_u32_e32 v44, vcc_lo, 0, v239, vcc_lo
	v_add_co_u32 v37, vcc_lo, 0x2800, v238
	v_add_co_ci_u32_e32 v38, vcc_lo, 0, v239, vcc_lo
	v_mad_u64_u32 v[6:7], null, s13, v237, v[4:5]
	v_mov_b32_e32 v1, v5
	v_add_co_u32 v41, vcc_lo, 0x3000, v238
	v_add_co_ci_u32_e32 v42, vcc_lo, 0, v239, vcc_lo
	v_lshlrev_b64 v[0:1], 3, v[0:1]
	v_mov_b32_e32 v4, v6
	v_add_co_u32 v39, vcc_lo, 0x3800, v238
	v_add_co_ci_u32_e32 v40, vcc_lo, 0, v239, vcc_lo
	v_lshlrev_b64 v[3:4], 3, v[3:4]
	v_add_co_u32 v0, vcc_lo, s10, v0
	v_add_co_ci_u32_e32 v1, vcc_lo, s11, v1, vcc_lo
	s_mul_i32 s1, s13, 0xe1
	s_mul_hi_u32 s8, s12, 0xe1
	v_add_co_u32 v0, vcc_lo, v0, v3
	s_mul_i32 s0, s12, 0xe1
	s_add_i32 s1, s8, s1
	v_add_co_ci_u32_e32 v1, vcc_lo, v1, v4, vcc_lo
	s_lshl_b64 s[14:15], s[0:1], 3
	s_clause 0x1
	global_load_dwordx2 v[230:231], v[35:36], off offset:1304
	global_load_dwordx2 v[254:255], v[33:34], off offset:1056
	v_add_co_u32 v3, vcc_lo, v0, s14
	v_add_co_ci_u32_e32 v4, vcc_lo, s15, v1, vcc_lo
	s_clause 0x2
	global_load_dwordx2 v[71:72], v[43:44], off offset:808
	global_load_dwordx2 v[69:70], v[37:38], off offset:560
	;; [unrolled: 1-line block ×3, first 2 shown]
	v_add_co_u32 v5, vcc_lo, v3, s14
	v_add_co_ci_u32_e32 v6, vcc_lo, s15, v4, vcc_lo
	s_clause 0x1
	global_load_dwordx2 v[13:14], v[0:1], off
	global_load_dwordx2 v[3:4], v[3:4], off
	v_add_co_u32 v7, vcc_lo, v5, s14
	v_add_co_ci_u32_e32 v8, vcc_lo, s15, v6, vcc_lo
	s_mul_i32 s9, s13, 0xfffff871
	v_add_co_u32 v9, vcc_lo, v7, s14
	v_add_co_ci_u32_e32 v10, vcc_lo, s15, v8, vcc_lo
	s_mul_hi_u32 s13, s12, 0xfffff871
	v_add_co_u32 v11, vcc_lo, v9, s14
	v_add_co_ci_u32_e32 v12, vcc_lo, s15, v10, vcc_lo
	s_sub_i32 s1, s13, s12
	v_add_co_u32 v0, vcc_lo, v11, s14
	v_add_co_ci_u32_e32 v1, vcc_lo, s15, v12, vcc_lo
	s_mul_i32 s0, s12, 0xfffff871
	v_add_co_u32 v15, vcc_lo, v0, s14
	v_add_co_ci_u32_e32 v16, vcc_lo, s15, v1, vcc_lo
	s_add_i32 s1, s1, s9
	v_add_co_u32 v17, vcc_lo, v15, s14
	v_add_co_ci_u32_e32 v18, vcc_lo, s15, v16, vcc_lo
	s_lshl_b64 s[0:1], s[0:1], 3
	v_add_co_u32 v19, vcc_lo, v17, s14
	v_add_co_ci_u32_e32 v20, vcc_lo, s15, v18, vcc_lo
	global_load_dwordx2 v[63:64], v[39:40], off offset:64
	s_clause 0x2
	global_load_dwordx2 v[5:6], v[5:6], off
	global_load_dwordx2 v[7:8], v[7:8], off
	global_load_dwordx2 v[9:10], v[9:10], off
	global_load_dwordx2 v[11:12], v[11:12], off
	global_load_dwordx2 v[21:22], v[0:1], off
	global_load_dwordx2 v[15:16], v[15:16], off
	global_load_dwordx2 v[17:18], v[17:18], off
	global_load_dwordx2 v[23:24], v[19:20], off
	v_add_co_u32 v0, vcc_lo, v19, s0
	v_add_co_ci_u32_e32 v1, vcc_lo, s1, v20, vcc_lo
	global_load_dwordx2 v[248:249], v[39:40], off offset:1864
	v_add_co_u32 v19, vcc_lo, v0, s14
	v_add_co_ci_u32_e32 v20, vcc_lo, s15, v1, vcc_lo
	global_load_dwordx2 v[25:26], v[0:1], off
	v_add_co_u32 v0, vcc_lo, v19, s14
	v_add_co_ci_u32_e32 v1, vcc_lo, s15, v20, vcc_lo
	global_load_dwordx2 v[75:76], v236, s[6:7] offset:720
	global_load_dwordx2 v[19:20], v[19:20], off
	global_load_dwordx2 v[61:62], v[35:36], off offset:224
	buffer_store_dword v29, off, s[16:19], 0 offset:56 ; 4-byte Folded Spill
	buffer_store_dword v30, off, s[16:19], 0 offset:60 ; 4-byte Folded Spill
	v_add_co_u32 v27, vcc_lo, v0, s14
	v_add_co_ci_u32_e32 v28, vcc_lo, s15, v1, vcc_lo
	s_load_dwordx2 s[6:7], s[4:5], 0x38
	global_load_dwordx2 v[73:74], v[29:30], off offset:472
	global_load_dwordx2 v[29:30], v[0:1], off
	global_load_dwordx2 v[31:32], v[27:28], off
	buffer_store_dword v33, off, s[16:19], 0 offset:40 ; 4-byte Folded Spill
	buffer_store_dword v34, off, s[16:19], 0 offset:44 ; 4-byte Folded Spill
	v_add_co_u32 v0, vcc_lo, v27, s14
	v_add_co_ci_u32_e32 v1, vcc_lo, s15, v28, vcc_lo
	s_waitcnt vmcnt(17)
	v_mul_f32_e32 v45, v4, v251
	v_add_co_u32 v27, vcc_lo, v0, s14
	v_add_co_ci_u32_e32 v28, vcc_lo, s15, v1, vcc_lo
	v_fmac_f32_e32 v45, v3, v250
	s_waitcnt vmcnt(15)
	v_mul_f32_e32 v47, v5, v235
	s_waitcnt vmcnt(14)
	v_mul_f32_e32 v48, v7, v231
	global_load_dwordx2 v[59:60], v[33:34], off offset:1776
	buffer_store_dword v35, off, s[16:19], 0 offset:48 ; 4-byte Folded Spill
	buffer_store_dword v36, off, s[16:19], 0 offset:52 ; 4-byte Folded Spill
	v_add_co_u32 v33, vcc_lo, v27, s14
	v_add_co_ci_u32_e32 v34, vcc_lo, s15, v28, vcc_lo
	global_load_dwordx2 v[27:28], v[27:28], off
	global_load_dwordx2 v[67:68], v[35:36], off offset:2024
	global_load_dwordx2 v[35:36], v[0:1], off
	buffer_store_dword v37, off, s[16:19], 0 offset:24 ; 4-byte Folded Spill
	buffer_store_dword v38, off, s[16:19], 0 offset:28 ; 4-byte Folded Spill
	v_add_co_u32 v0, vcc_lo, v33, s14
	v_add_co_ci_u32_e32 v1, vcc_lo, s15, v34, vcc_lo
	global_load_dwordx2 v[55:56], v[37:38], off offset:1280
	buffer_store_dword v43, off, s[16:19], 0 offset:32 ; 4-byte Folded Spill
	buffer_store_dword v44, off, s[16:19], 0 offset:36 ; 4-byte Folded Spill
	global_load_dwordx2 v[57:58], v[43:44], off offset:1528
	global_load_dwordx2 v[33:34], v[33:34], off
	global_load_dwordx2 v[37:38], v[0:1], off
	buffer_store_dword v39, off, s[16:19], 0 offset:8 ; 4-byte Folded Spill
	buffer_store_dword v40, off, s[16:19], 0 offset:12 ; 4-byte Folded Spill
	v_mul_f32_e32 v44, v13, v253
	v_mul_f32_e32 v43, v14, v253
	v_fma_f32 v44, v14, v252, -v44
	v_mul_f32_e32 v14, v3, v251
	v_mul_f32_e32 v3, v6, v235
	v_fmac_f32_e32 v43, v13, v252
	v_mul_f32_e32 v13, v8, v231
	v_fma_f32 v46, v4, v250, -v14
	v_fmac_f32_e32 v3, v5, v234
	v_fma_f32 v4, v6, v234, -v47
	v_fmac_f32_e32 v13, v7, v230
	v_fma_f32 v14, v8, v230, -v48
	s_waitcnt vmcnt(21)
	v_mul_f32_e32 v5, v10, v255
	s_waitcnt vmcnt(19)
	v_mul_f32_e32 v7, v22, v70
	v_mul_f32_e32 v8, v11, v72
	v_fmac_f32_e32 v5, v9, v254
	v_fmac_f32_e32 v7, v21, v69
	global_load_dwordx2 v[49:50], v[39:40], off offset:784
	buffer_store_dword v41, off, s[16:19], 0 offset:16 ; 4-byte Folded Spill
	buffer_store_dword v42, off, s[16:19], 0 offset:20 ; 4-byte Folded Spill
	v_add_co_u32 v39, vcc_lo, v0, s14
	v_add_co_ci_u32_e32 v40, vcc_lo, s15, v1, vcc_lo
	global_load_dwordx2 v[51:52], v[41:42], off offset:1032
	v_add_co_u32 v41, vcc_lo, 0x4000, v238
	v_add_co_ci_u32_e32 v42, vcc_lo, 0, v239, vcc_lo
	v_add_co_u32 v0, vcc_lo, v39, s14
	v_add_co_ci_u32_e32 v1, vcc_lo, s15, v40, vcc_lo
	global_load_dwordx2 v[39:40], v[39:40], off
	buffer_store_dword v41, off, s[16:19], 0 ; 4-byte Folded Spill
	buffer_store_dword v42, off, s[16:19], 0 offset:4 ; 4-byte Folded Spill
	v_cmp_gt_u16_e32 vcc_lo, 45, v2
	global_load_dwordx2 v[53:54], v[41:42], off offset:536
	global_load_dwordx2 v[41:42], v[0:1], off
	s_load_dwordx4 s[8:11], s[2:3], 0x0
	ds_write_b64 v236, v[45:46] offset:1800
	ds_write_b64 v236, v[3:4] offset:3600
	v_mul_f32_e32 v3, v12, v72
	ds_write_b64 v236, v[13:14] offset:5400
	v_mul_f32_e32 v4, v9, v255
	v_mul_f32_e32 v9, v21, v70
	v_fmac_f32_e32 v3, v11, v71
	buffer_store_dword v71, off, s[16:19], 0 offset:152 ; 4-byte Folded Spill
	buffer_store_dword v72, off, s[16:19], 0 offset:156 ; 4-byte Folded Spill
	;; [unrolled: 1-line block ×4, first 2 shown]
	v_fma_f32 v6, v10, v254, -v4
	v_fma_f32 v4, v12, v71, -v8
	;; [unrolled: 1-line block ×3, first 2 shown]
	s_waitcnt vmcnt(23)
	v_mul_f32_e32 v9, v16, v66
	ds_write_b64 v236, v[5:6] offset:7200
	ds_write_b64 v236, v[3:4] offset:9000
	s_waitcnt vmcnt(22)
	v_mul_f32_e32 v3, v18, v64
	v_mul_f32_e32 v4, v15, v66
	ds_write_b64 v236, v[7:8] offset:10800
	v_fmac_f32_e32 v9, v15, v65
	v_mul_f32_e32 v6, v17, v64
	buffer_store_dword v65, off, s[16:19], 0 offset:128 ; 4-byte Folded Spill
	buffer_store_dword v66, off, s[16:19], 0 offset:132 ; 4-byte Folded Spill
	v_fmac_f32_e32 v3, v17, v63
	buffer_store_dword v63, off, s[16:19], 0 offset:120 ; 4-byte Folded Spill
	buffer_store_dword v64, off, s[16:19], 0 offset:124 ; 4-byte Folded Spill
	s_waitcnt vmcnt(20)
	v_mul_f32_e32 v5, v24, v249
	v_mul_f32_e32 v7, v23, v249
	v_fmac_f32_e32 v5, v23, v248
	v_fma_f32 v10, v16, v65, -v4
	v_fma_f32 v4, v18, v63, -v6
	;; [unrolled: 1-line block ×3, first 2 shown]
	s_waitcnt vmcnt(18)
	v_mul_f32_e32 v7, v26, v76
	ds_write_b64 v236, v[9:10] offset:12600
	ds_write_b64 v236, v[3:4] offset:14400
	s_waitcnt vmcnt(15)
	v_mul_f32_e32 v3, v20, v74
	ds_write_b64 v236, v[5:6] offset:16200
	s_waitcnt vmcnt(14)
	v_mul_f32_e32 v5, v30, v62
	v_mul_f32_e32 v4, v25, v76
	v_fmac_f32_e32 v7, v25, v75
	v_mul_f32_e32 v6, v19, v74
	v_mul_f32_e32 v9, v29, v62
	buffer_store_dword v75, off, s[16:19], 0 offset:220 ; 4-byte Folded Spill
	buffer_store_dword v76, off, s[16:19], 0 offset:224 ; 4-byte Folded Spill
	v_fmac_f32_e32 v3, v19, v73
	buffer_store_dword v73, off, s[16:19], 0 offset:168 ; 4-byte Folded Spill
	buffer_store_dword v74, off, s[16:19], 0 offset:172 ; 4-byte Folded Spill
	v_fmac_f32_e32 v5, v29, v61
	buffer_store_dword v61, off, s[16:19], 0 offset:112 ; 4-byte Folded Spill
	buffer_store_dword v62, off, s[16:19], 0 offset:116 ; 4-byte Folded Spill
	s_waitcnt vmcnt(10)
	v_mul_f32_e32 v10, v31, v68
	v_fma_f32 v8, v26, v75, -v4
	v_fma_f32 v4, v20, v73, -v6
	;; [unrolled: 1-line block ×3, first 2 shown]
	v_mul_f32_e32 v9, v32, v68
	ds_write2_b64 v236, v[43:44], v[7:8] offset1:90
	ds_write_b64 v236, v[3:4] offset:2520
	ds_write_b64 v236, v[5:6] offset:4320
	s_waitcnt vmcnt(9)
	v_mul_f32_e32 v3, v36, v60
	s_waitcnt vmcnt(7)
	v_mul_f32_e32 v5, v28, v58
	v_fmac_f32_e32 v9, v31, v67
	buffer_store_dword v67, off, s[16:19], 0 offset:136 ; 4-byte Folded Spill
	buffer_store_dword v68, off, s[16:19], 0 offset:140 ; 4-byte Folded Spill
	v_mul_f32_e32 v4, v35, v60
	v_fmac_f32_e32 v3, v35, v59
	v_mul_f32_e32 v6, v27, v58
	v_fmac_f32_e32 v5, v27, v57
	s_waitcnt vmcnt(6)
	v_mul_f32_e32 v7, v34, v56
	v_mul_f32_e32 v8, v33, v56
	v_fmac_f32_e32 v7, v33, v55
	v_fma_f32 v10, v32, v67, -v10
	ds_write_b64 v236, v[9:10] offset:6120
	buffer_store_dword v59, off, s[16:19], 0 offset:104 ; 4-byte Folded Spill
	buffer_store_dword v60, off, s[16:19], 0 offset:108 ; 4-byte Folded Spill
	;; [unrolled: 1-line block ×4, first 2 shown]
	s_waitcnt vmcnt(0)
	v_mul_f32_e32 v9, v42, v54
	v_mul_f32_e32 v10, v41, v54
	v_fmac_f32_e32 v9, v41, v53
	v_fma_f32 v4, v36, v59, -v4
	v_fma_f32 v6, v28, v57, -v6
	ds_write_b64 v236, v[3:4] offset:7920
	v_mul_f32_e32 v3, v38, v52
	ds_write_b64 v236, v[5:6] offset:9720
	v_mul_f32_e32 v5, v40, v50
	buffer_store_dword v55, off, s[16:19], 0 offset:88 ; 4-byte Folded Spill
	buffer_store_dword v56, off, s[16:19], 0 offset:92 ; 4-byte Folded Spill
	v_mul_f32_e32 v4, v37, v52
	v_fmac_f32_e32 v3, v37, v51
	buffer_store_dword v51, off, s[16:19], 0 offset:72 ; 4-byte Folded Spill
	buffer_store_dword v52, off, s[16:19], 0 offset:76 ; 4-byte Folded Spill
	v_mul_f32_e32 v6, v39, v50
	v_fmac_f32_e32 v5, v39, v49
	buffer_store_dword v49, off, s[16:19], 0 offset:64 ; 4-byte Folded Spill
	buffer_store_dword v50, off, s[16:19], 0 offset:68 ; 4-byte Folded Spill
	;; [unrolled: 1-line block ×4, first 2 shown]
	v_fma_f32 v8, v34, v55, -v8
	v_fma_f32 v4, v38, v51, -v4
	;; [unrolled: 1-line block ×4, first 2 shown]
	ds_write_b64 v236, v[7:8] offset:11520
	ds_write_b64 v236, v[3:4] offset:13320
	ds_write_b64 v236, v[5:6] offset:15120
	ds_write_b64 v236, v[9:10] offset:16920
	s_and_saveexec_b32 s2, vcc_lo
	s_cbranch_execz .LBB0_3
; %bb.2:
	v_add_co_u32 v0, s0, v0, s0
	v_add_co_ci_u32_e64 v1, s0, s1, v1, s0
	v_add_nc_u32_e32 v44, 0x500, v236
	v_add_co_u32 v2, s0, v0, s14
	v_add_co_ci_u32_e64 v3, s0, s15, v1, s0
	v_add_nc_u32_e32 v45, 0x1300, v236
	v_add_co_u32 v4, s0, v2, s14
	v_add_co_ci_u32_e64 v5, s0, s15, v3, s0
	global_load_dwordx2 v[6:7], v[238:239], off offset:1440
	global_load_dwordx2 v[0:1], v[0:1], off
	global_load_dwordx2 v[2:3], v[2:3], off
	;; [unrolled: 1-line block ×3, first 2 shown]
	s_clause 0x1
	buffer_load_dword v10, off, s[16:19], 0 offset:56
	buffer_load_dword v11, off, s[16:19], 0 offset:60
	v_add_co_u32 v4, s0, v4, s14
	v_add_co_ci_u32_e64 v5, s0, s15, v5, s0
	v_add_nc_u32_e32 v46, 0x2100, v236
	v_add_co_u32 v14, s0, v4, s14
	v_add_co_ci_u32_e64 v15, s0, s15, v5, s0
	v_add_nc_u32_e32 v47, 0x2f00, v236
	v_add_co_u32 v16, s0, v14, s14
	v_add_co_ci_u32_e64 v17, s0, s15, v15, s0
	v_add_co_u32 v18, s0, v16, s14
	v_add_co_ci_u32_e64 v19, s0, s15, v17, s0
	;; [unrolled: 2-line block ×3, first 2 shown]
	s_waitcnt vmcnt(4)
	v_mul_f32_e32 v40, v1, v7
	v_mul_f32_e32 v7, v0, v7
	s_waitcnt vmcnt(0)
	global_load_dwordx2 v[10:11], v[10:11], off offset:1192
	s_clause 0x1
	buffer_load_dword v12, off, s[16:19], 0 offset:48
	buffer_load_dword v13, off, s[16:19], 0 offset:52
	global_load_dwordx2 v[4:5], v[4:5], off
	global_load_dwordx2 v[14:15], v[14:15], off
	v_fmac_f32_e32 v40, v0, v6
	v_fma_f32 v41, v1, v6, -v7
	s_waitcnt vmcnt(4)
	v_mul_f32_e32 v42, v3, v11
	s_waitcnt vmcnt(2)
	global_load_dwordx2 v[12:13], v[12:13], off offset:944
	s_clause 0x1
	buffer_load_dword v20, off, s[16:19], 0 offset:40
	buffer_load_dword v21, off, s[16:19], 0 offset:44
	v_mul_f32_e32 v11, v2, v11
	v_fmac_f32_e32 v42, v2, v10
	v_fma_f32 v43, v3, v10, -v11
	s_waitcnt vmcnt(2)
	v_mul_f32_e32 v0, v9, v13
	s_waitcnt vmcnt(0)
	global_load_dwordx2 v[20:21], v[20:21], off offset:696
	s_clause 0x1
	buffer_load_dword v22, off, s[16:19], 0 offset:32
	buffer_load_dword v23, off, s[16:19], 0 offset:36
	v_mul_f32_e32 v1, v8, v13
	v_fmac_f32_e32 v0, v8, v12
	v_fma_f32 v1, v9, v12, -v1
	s_waitcnt vmcnt(2)
	v_mul_f32_e32 v2, v5, v21
	s_waitcnt vmcnt(0)
	global_load_dwordx2 v[22:23], v[22:23], off offset:448
	global_load_dwordx2 v[16:17], v[16:17], off
	global_load_dwordx2 v[18:19], v[18:19], off
	s_clause 0x1
	buffer_load_dword v28, off, s[16:19], 0 offset:24
	buffer_load_dword v29, off, s[16:19], 0 offset:28
	v_mul_f32_e32 v3, v4, v21
	v_fmac_f32_e32 v2, v4, v20
	s_waitcnt vmcnt(0)
	s_clause 0x1
	global_load_dwordx2 v[26:27], v[28:29], off offset:200
	global_load_dwordx2 v[28:29], v[28:29], off offset:2000
	global_load_dwordx2 v[30:31], v[24:25], off
	s_clause 0x1
	buffer_load_dword v32, off, s[16:19], 0 offset:16
	buffer_load_dword v33, off, s[16:19], 0 offset:20
	v_add_co_u32 v24, s0, v24, s14
	v_add_co_ci_u32_e64 v25, s0, s15, v25, s0
	v_mul_f32_e32 v6, v15, v23
	v_add_co_u32 v34, s0, v24, s14
	v_add_co_ci_u32_e64 v35, s0, s15, v25, s0
	global_load_dwordx2 v[24:25], v[24:25], off
	v_mul_f32_e32 v7, v14, v23
	v_fma_f32 v3, v5, v20, -v3
	v_fmac_f32_e32 v6, v14, v22
	v_fma_f32 v7, v15, v22, -v7
	s_waitcnt vmcnt(5)
	v_mul_f32_e32 v4, v17, v27
	v_mul_f32_e32 v5, v16, v27
	s_waitcnt vmcnt(4)
	v_mul_f32_e32 v8, v19, v29
	s_waitcnt vmcnt(1)
	global_load_dwordx2 v[32:33], v[32:33], off offset:1752
	s_clause 0x1
	buffer_load_dword v36, off, s[16:19], 0 offset:8
	buffer_load_dword v37, off, s[16:19], 0 offset:12
	v_mul_f32_e32 v9, v18, v29
	v_fmac_f32_e32 v4, v16, v26
	v_fma_f32 v5, v17, v26, -v5
	v_fmac_f32_e32 v8, v18, v28
	v_add_nc_u32_e32 v16, 0x3d00, v236
	v_fma_f32 v9, v19, v28, -v9
	s_waitcnt vmcnt(2)
	v_mul_f32_e32 v10, v31, v33
	s_waitcnt vmcnt(0)
	global_load_dwordx2 v[36:37], v[36:37], off offset:1504
	s_clause 0x1
	buffer_load_dword v38, off, s[16:19], 0
	buffer_load_dword v39, off, s[16:19], 0 offset:4
	v_mul_f32_e32 v11, v30, v33
	s_waitcnt vmcnt(0)
	global_load_dwordx2 v[38:39], v[38:39], off offset:1256
	global_load_dwordx2 v[34:35], v[34:35], off
	v_mul_f32_e32 v12, v25, v37
	v_mul_f32_e32 v13, v24, v37
	v_fmac_f32_e32 v10, v30, v32
	v_fma_f32 v11, v31, v32, -v11
	v_fmac_f32_e32 v12, v24, v36
	v_fma_f32 v13, v25, v36, -v13
	s_waitcnt vmcnt(0)
	v_mul_f32_e32 v14, v35, v39
	v_mul_f32_e32 v15, v34, v39
	v_fmac_f32_e32 v14, v34, v38
	v_fma_f32 v15, v35, v38, -v15
	ds_write2_b64 v44, v[40:41], v[42:43] offset0:20 offset1:245
	ds_write2_b64 v45, v[0:1], v[2:3] offset0:22 offset1:247
	;; [unrolled: 1-line block ×5, first 2 shown]
.LBB0_3:
	s_or_b32 exec_lo, exec_lo, s2
	v_add_nc_u32_e32 v0, 0x400, v236
	v_add_nc_u32_e32 v1, 0xc00, v236
	;; [unrolled: 1-line block ×4, first 2 shown]
	s_waitcnt lgkmcnt(0)
	s_waitcnt_vscnt null, 0x0
	s_barrier
	buffer_gl0_inv
	ds_read2_b64 v[20:23], v236 offset1:90
	ds_read2_b64 v[24:27], v0 offset0:97 offset1:187
	ds_read2_b64 v[60:63], v1 offset0:66 offset1:156
	;; [unrolled: 1-line block ×4, first 2 shown]
	v_add_nc_u32_e32 v0, 0x2000, v236
	v_add_nc_u32_e32 v1, 0x2800, v236
	;; [unrolled: 1-line block ×5, first 2 shown]
	ds_read2_b64 v[50:53], v0 offset0:101 offset1:191
	ds_read2_b64 v[68:71], v1 offset0:70 offset1:160
	;; [unrolled: 1-line block ×5, first 2 shown]
                                        ; implicit-def: $vgpr8
                                        ; implicit-def: $vgpr0
                                        ; implicit-def: $vgpr12
                                        ; implicit-def: $vgpr16
                                        ; implicit-def: $vgpr4
	s_and_saveexec_b32 s0, vcc_lo
	s_cbranch_execz .LBB0_5
; %bb.4:
	v_add_nc_u32_e32 v0, 0x500, v236
	v_add_nc_u32_e32 v1, 0x1300, v236
	;; [unrolled: 1-line block ×5, first 2 shown]
	ds_read2_b64 v[8:11], v0 offset0:20 offset1:245
	ds_read2_b64 v[0:3], v1 offset0:22 offset1:247
	;; [unrolled: 1-line block ×5, first 2 shown]
.LBB0_5:
	s_or_b32 exec_lo, exec_lo, s0
	s_waitcnt lgkmcnt(3)
	v_add_f32_e32 v32, v64, v68
	v_add_f32_e32 v33, v20, v60
	s_waitcnt lgkmcnt(1)
	v_sub_f32_e32 v34, v61, v73
	v_add_f32_e32 v37, v60, v72
	v_sub_f32_e32 v36, v72, v68
	v_fma_f32 v46, -0.5, v32, v20
	v_add_f32_e32 v33, v33, v64
	v_sub_f32_e32 v32, v60, v64
	v_sub_f32_e32 v35, v65, v69
	v_add_co_u32 v171, s0, 0x5a, v237
	v_fmamk_f32 v47, v34, 0x3f737871, v46
	v_add_f32_e32 v33, v33, v68
	v_fma_f32 v20, -0.5, v37, v20
	v_fmac_f32_e32 v46, 0xbf737871, v34
	v_add_f32_e32 v37, v21, v61
	v_add_co_ci_u32_e64 v96, null, 0, 0, s0
	v_add_co_u32 v170, s0, 0xb4, v237
	v_add_f32_e32 v32, v32, v36
	v_add_co_ci_u32_e64 v36, null, 0, 0, s0
	v_fmac_f32_e32 v47, 0x3f167918, v35
	v_add_f32_e32 v54, v33, v72
	v_fmamk_f32 v55, v35, 0xbf737871, v20
	v_sub_f32_e32 v33, v64, v60
	v_sub_f32_e32 v36, v68, v72
	v_fmac_f32_e32 v46, 0xbf167918, v35
	v_add_f32_e32 v48, v65, v69
	v_fmac_f32_e32 v20, 0x3f737871, v35
	v_add_f32_e32 v35, v37, v65
	v_fmac_f32_e32 v47, 0x3e9e377a, v32
	v_fmac_f32_e32 v55, 0x3f167918, v34
	v_add_f32_e32 v33, v33, v36
	v_fma_f32 v76, -0.5, v48, v21
	v_sub_f32_e32 v36, v60, v72
	v_fmac_f32_e32 v46, 0x3e9e377a, v32
	v_fmac_f32_e32 v20, 0xbf167918, v34
	v_add_f32_e32 v32, v35, v69
	v_add_f32_e32 v34, v61, v73
	v_sub_f32_e32 v37, v61, v65
	v_sub_f32_e32 v48, v73, v69
	v_fmac_f32_e32 v55, 0x3e9e377a, v33
	v_fmamk_f32 v57, v36, 0xbf737871, v76
	v_sub_f32_e32 v35, v64, v68
	v_fmac_f32_e32 v20, 0x3e9e377a, v33
	v_fma_f32 v21, -0.5, v34, v21
	v_add_f32_e32 v59, v32, v73
	v_add_f32_e32 v32, v37, v48
	v_fmac_f32_e32 v76, 0x3f737871, v36
	v_sub_f32_e32 v33, v65, v61
	v_sub_f32_e32 v34, v69, v73
	v_add_f32_e32 v37, v24, v38
	v_fmac_f32_e32 v57, 0xbf167918, v35
	v_fmamk_f32 v64, v35, 0x3f737871, v21
	v_fmac_f32_e32 v76, 0x3f167918, v35
	v_add_f32_e32 v33, v33, v34
	v_fmac_f32_e32 v21, 0xbf737871, v35
	v_add_f32_e32 v34, v37, v50
	v_add_f32_e32 v35, v50, v42
	v_fmac_f32_e32 v57, 0x3e9e377a, v32
	v_fmac_f32_e32 v64, 0xbf167918, v36
	;; [unrolled: 1-line block ×4, first 2 shown]
	v_add_f32_e32 v32, v34, v42
	v_fma_f32 v35, -0.5, v35, v24
	s_waitcnt lgkmcnt(0)
	v_add_f32_e32 v34, v38, v28
	v_sub_f32_e32 v36, v39, v29
	v_fmac_f32_e32 v64, 0x3e9e377a, v33
	v_fmac_f32_e32 v21, 0x3e9e377a, v33
	v_add_f32_e32 v56, v32, v28
	v_sub_f32_e32 v32, v51, v43
	v_fma_f32 v24, -0.5, v34, v24
	v_fmamk_f32 v33, v36, 0x3f737871, v35
	v_sub_f32_e32 v34, v38, v50
	v_sub_f32_e32 v37, v28, v42
	v_fmac_f32_e32 v35, 0xbf737871, v36
	v_fmamk_f32 v48, v32, 0xbf737871, v24
	v_fmac_f32_e32 v33, 0x3f167918, v32
	v_sub_f32_e32 v49, v50, v38
	v_add_f32_e32 v34, v34, v37
	v_fmac_f32_e32 v35, 0xbf167918, v32
	v_sub_f32_e32 v58, v42, v28
	v_fmac_f32_e32 v24, 0x3f737871, v32
	v_add_f32_e32 v32, v51, v43
	v_fmac_f32_e32 v33, 0x3e9e377a, v34
	v_fmac_f32_e32 v35, 0x3e9e377a, v34
	v_add_f32_e32 v34, v39, v29
	v_fmac_f32_e32 v48, 0x3f167918, v36
	v_add_f32_e32 v37, v49, v58
	;; [unrolled: 2-line block ×3, first 2 shown]
	v_fma_f32 v49, -0.5, v32, v25
	v_sub_f32_e32 v32, v50, v42
	v_fma_f32 v25, -0.5, v34, v25
	v_sub_f32_e32 v28, v38, v28
	v_add_f32_e32 v34, v36, v51
	v_sub_f32_e32 v36, v39, v51
	v_sub_f32_e32 v38, v51, v39
	v_fmamk_f32 v42, v32, 0x3f737871, v25
	v_sub_f32_e32 v39, v43, v29
	v_fmac_f32_e32 v48, 0x3e9e377a, v37
	v_fmac_f32_e32 v24, 0x3e9e377a, v37
	v_fmamk_f32 v37, v28, 0xbf737871, v49
	v_sub_f32_e32 v50, v29, v43
	v_fmac_f32_e32 v25, 0xbf737871, v32
	v_fmac_f32_e32 v42, 0xbf167918, v28
	v_add_f32_e32 v38, v38, v39
	v_fmac_f32_e32 v49, 0x3f737871, v28
	v_fmac_f32_e32 v37, 0xbf167918, v32
	v_add_f32_e32 v36, v36, v50
	v_fmac_f32_e32 v25, 0x3f167918, v28
	v_fmac_f32_e32 v42, 0x3e9e377a, v38
	;; [unrolled: 1-line block ×3, first 2 shown]
	v_add_f32_e32 v28, v34, v43
	v_fmac_f32_e32 v37, 0x3e9e377a, v36
	v_fmac_f32_e32 v25, 0x3e9e377a, v38
	v_mul_f32_e32 v43, 0x3f4f1bbd, v33
	v_mul_f32_e32 v51, 0x3f737871, v42
	;; [unrolled: 1-line block ×3, first 2 shown]
	v_fmac_f32_e32 v49, 0x3e9e377a, v36
	v_mul_f32_e32 v39, 0x3f4f1bbd, v35
	v_mul_f32_e32 v61, 0xbf167918, v33
	;; [unrolled: 1-line block ×3, first 2 shown]
	v_add_f32_e32 v28, v28, v29
	v_fmac_f32_e32 v43, 0x3f167918, v37
	v_fmac_f32_e32 v51, 0x3e9e377a, v48
	v_fma_f32 v29, 0x3f737871, v25, -v32
	v_fma_f32 v60, 0x3f167918, v49, -v39
	v_mul_f32_e32 v25, 0x3e9e377a, v25
	v_fmac_f32_e32 v61, 0x3f4f1bbd, v37
	v_fmac_f32_e32 v65, 0x3e9e377a, v42
	v_add_f32_e32 v42, v66, v70
	v_add_f32_e32 v36, v54, v56
	;; [unrolled: 1-line block ×5, first 2 shown]
	v_mul_f32_e32 v33, 0x3f4f1bbd, v49
	v_add_f32_e32 v48, v46, v60
	v_fma_f32 v24, 0xbf737871, v24, -v25
	v_add_f32_e32 v39, v57, v61
	v_sub_f32_e32 v50, v54, v56
	v_sub_f32_e32 v54, v47, v43
	;; [unrolled: 1-line block ×5, first 2 shown]
	v_fma_f32 v46, -0.5, v42, v22
	v_sub_f32_e32 v29, v63, v75
	v_sub_f32_e32 v55, v57, v61
	;; [unrolled: 1-line block ×4, first 2 shown]
	v_add_f32_e32 v61, v62, v74
	v_fma_f32 v25, 0xbf167918, v35, -v33
	v_add_f32_e32 v37, v59, v28
	v_add_f32_e32 v35, v21, v24
	;; [unrolled: 1-line block ×3, first 2 shown]
	v_sub_f32_e32 v51, v59, v28
	v_fmamk_f32 v47, v29, 0x3f737871, v46
	v_sub_f32_e32 v28, v67, v71
	v_sub_f32_e32 v59, v21, v24
	v_add_f32_e32 v21, v42, v43
	v_fma_f32 v22, -0.5, v61, v22
	v_fmac_f32_e32 v46, 0xbf737871, v29
	v_add_f32_e32 v43, v23, v63
	v_add_f32_e32 v33, v64, v65
	;; [unrolled: 1-line block ×3, first 2 shown]
	v_sub_f32_e32 v57, v64, v65
	v_fmac_f32_e32 v47, 0x3f167918, v28
	v_sub_f32_e32 v61, v76, v25
	v_fmamk_f32 v24, v28, 0xbf737871, v22
	v_sub_f32_e32 v25, v66, v62
	v_sub_f32_e32 v42, v70, v74
	v_fmac_f32_e32 v46, 0xbf167918, v28
	v_add_f32_e32 v64, v67, v71
	v_fmac_f32_e32 v22, 0x3f737871, v28
	v_add_f32_e32 v28, v43, v67
	v_add_f32_e32 v20, v20, v66
	v_fmac_f32_e32 v47, 0x3e9e377a, v21
	v_fmac_f32_e32 v24, 0x3f167918, v29
	v_add_f32_e32 v25, v25, v42
	v_fma_f32 v73, -0.5, v64, v23
	v_sub_f32_e32 v42, v62, v74
	v_fmac_f32_e32 v46, 0x3e9e377a, v21
	v_fmac_f32_e32 v22, 0xbf167918, v29
	v_add_f32_e32 v21, v28, v71
	v_add_f32_e32 v28, v63, v75
	v_sub_f32_e32 v43, v63, v67
	v_sub_f32_e32 v62, v75, v71
	v_add_f32_e32 v20, v20, v70
	v_fmac_f32_e32 v24, 0x3e9e377a, v25
	v_fmamk_f32 v69, v42, 0xbf737871, v73
	v_sub_f32_e32 v29, v66, v70
	v_fmac_f32_e32 v22, 0x3e9e377a, v25
	v_fmac_f32_e32 v23, -0.5, v28
	v_add_f32_e32 v25, v43, v62
	v_fmac_f32_e32 v73, 0x3f737871, v42
	v_sub_f32_e32 v28, v67, v63
	v_sub_f32_e32 v43, v71, v75
	v_add_f32_e32 v62, v26, v40
	v_add_f32_e32 v20, v20, v74
	v_fmac_f32_e32 v69, 0xbf167918, v29
	v_fmamk_f32 v74, v29, 0x3f737871, v23
	v_fmac_f32_e32 v73, 0x3f167918, v29
	v_add_f32_e32 v28, v28, v43
	v_fmac_f32_e32 v23, 0xbf737871, v29
	v_add_f32_e32 v29, v62, v52
	v_add_f32_e32 v43, v52, v44
	v_fmac_f32_e32 v69, 0x3e9e377a, v25
	v_fmac_f32_e32 v74, 0xbf167918, v42
	;; [unrolled: 1-line block ×4, first 2 shown]
	v_add_f32_e32 v25, v29, v44
	v_fma_f32 v29, -0.5, v43, v26
	v_add_f32_e32 v42, v40, v30
	v_sub_f32_e32 v43, v41, v31
	v_fmac_f32_e32 v74, 0x3e9e377a, v28
	v_fmac_f32_e32 v23, 0x3e9e377a, v28
	v_sub_f32_e32 v28, v53, v45
	v_fma_f32 v63, -0.5, v42, v26
	v_fmamk_f32 v62, v43, 0x3f737871, v29
	v_sub_f32_e32 v26, v40, v52
	v_sub_f32_e32 v42, v30, v44
	v_fmac_f32_e32 v29, 0xbf737871, v43
	v_fmamk_f32 v64, v28, 0xbf737871, v63
	v_fmac_f32_e32 v62, 0x3f167918, v28
	v_sub_f32_e32 v65, v52, v40
	v_add_f32_e32 v26, v26, v42
	v_fmac_f32_e32 v29, 0xbf167918, v28
	v_sub_f32_e32 v66, v44, v30
	v_fmac_f32_e32 v63, 0x3f737871, v28
	v_add_f32_e32 v28, v41, v31
	v_fmac_f32_e32 v62, 0x3e9e377a, v26
	v_fmac_f32_e32 v29, 0x3e9e377a, v26
	v_add_f32_e32 v26, v53, v45
	v_add_f32_e32 v25, v25, v30
	v_fmac_f32_e32 v64, 0x3f167918, v43
	v_add_f32_e32 v42, v65, v66
	v_fmac_f32_e32 v63, 0xbf167918, v43
	v_add_f32_e32 v43, v27, v41
	v_fma_f32 v65, -0.5, v26, v27
	v_sub_f32_e32 v26, v40, v30
	v_sub_f32_e32 v30, v52, v44
	v_fmac_f32_e32 v27, -0.5, v28
	v_fmac_f32_e32 v64, 0x3e9e377a, v42
	v_fmac_f32_e32 v63, 0x3e9e377a, v42
	v_sub_f32_e32 v40, v41, v53
	v_sub_f32_e32 v41, v53, v41
	v_fmamk_f32 v44, v30, 0x3f737871, v27
	v_sub_f32_e32 v42, v45, v31
	v_fmac_f32_e32 v27, 0xbf737871, v30
	v_add_f32_e32 v28, v43, v53
	v_fmamk_f32 v43, v26, 0xbf737871, v65
	v_fmac_f32_e32 v44, 0xbf167918, v26
	v_add_f32_e32 v41, v41, v42
	v_sub_f32_e32 v52, v31, v45
	v_fmac_f32_e32 v27, 0x3f167918, v26
	v_fmac_f32_e32 v43, 0xbf167918, v30
	v_fmac_f32_e32 v65, 0x3f737871, v26
	v_fmac_f32_e32 v44, 0x3e9e377a, v41
	v_add_f32_e32 v40, v40, v52
	v_add_f32_e32 v26, v28, v45
	v_fmac_f32_e32 v27, 0x3e9e377a, v41
	v_mul_f32_e32 v28, 0x3e9e377a, v63
	v_mul_f32_e32 v45, 0x3f737871, v44
	v_fmac_f32_e32 v43, 0x3e9e377a, v40
	v_fmac_f32_e32 v65, 0x3f167918, v30
	v_mul_f32_e32 v30, 0x3f4f1bbd, v62
	v_add_f32_e32 v31, v26, v31
	v_fmac_f32_e32 v45, 0x3e9e377a, v64
	v_fma_f32 v52, 0x3f737871, v27, -v28
	v_add_f32_e32 v26, v20, v25
	v_mul_f32_e32 v71, 0xbf737871, v64
	v_sub_f32_e32 v64, v20, v25
	v_add_f32_e32 v20, v12, v16
	v_add_f32_e32 v21, v21, v75
	v_fmac_f32_e32 v65, 0x3e9e377a, v40
	v_fmac_f32_e32 v30, 0x3f167918, v43
	v_mul_f32_e32 v41, 0x3f4f1bbd, v29
	v_add_f32_e32 v40, v24, v45
	v_add_f32_e32 v42, v22, v52
	v_mul_f32_e32 v67, 0xbf167918, v62
	v_mul_f32_e32 v27, 0x3e9e377a, v27
	v_sub_f32_e32 v68, v24, v45
	v_sub_f32_e32 v70, v22, v52
	v_add_f32_e32 v22, v8, v0
	v_fma_f32 v25, -0.5, v20, v8
	v_sub_f32_e32 v24, v1, v5
	v_add_f32_e32 v45, v0, v4
	v_add_f32_e32 v28, v47, v30
	v_fma_f32 v53, 0x3f167918, v65, -v41
	v_mul_f32_e32 v41, 0x3f4f1bbd, v65
	v_fmac_f32_e32 v67, 0x3f4f1bbd, v43
	v_fmac_f32_e32 v71, 0x3e9e377a, v44
	v_fma_f32 v44, 0xbf737871, v63, -v27
	v_add_f32_e32 v27, v21, v31
	v_sub_f32_e32 v66, v47, v30
	v_sub_f32_e32 v65, v21, v31
	v_add_f32_e32 v21, v22, v12
	v_fmamk_f32 v20, v24, 0x3f737871, v25
	v_sub_f32_e32 v30, v13, v17
	v_sub_f32_e32 v22, v0, v12
	;; [unrolled: 1-line block ×3, first 2 shown]
	v_fmac_f32_e32 v8, -0.5, v45
	v_fmac_f32_e32 v25, 0xbf737871, v24
	v_add_f32_e32 v45, v9, v1
	v_add_f32_e32 v62, v46, v53
	v_fma_f32 v75, 0xbf167918, v29, -v41
	v_add_f32_e32 v29, v69, v67
	v_add_f32_e32 v41, v74, v71
	;; [unrolled: 1-line block ×3, first 2 shown]
	v_sub_f32_e32 v72, v46, v53
	v_sub_f32_e32 v67, v69, v67
	;; [unrolled: 1-line block ×4, first 2 shown]
	v_add_f32_e32 v21, v21, v16
	v_fmac_f32_e32 v20, 0x3f167918, v30
	v_add_f32_e32 v23, v22, v31
	v_fmamk_f32 v22, v30, 0xbf737871, v8
	v_fmac_f32_e32 v25, 0xbf167918, v30
	v_add_f32_e32 v46, v13, v17
	v_fmac_f32_e32 v8, 0x3f737871, v30
	v_add_f32_e32 v30, v45, v13
	v_add_f32_e32 v21, v21, v4
	v_sub_f32_e32 v31, v12, v0
	v_sub_f32_e32 v44, v16, v4
	v_fmac_f32_e32 v22, 0x3f167918, v24
	v_fma_f32 v52, -0.5, v46, v9
	v_sub_f32_e32 v0, v0, v4
	v_fmac_f32_e32 v8, 0xbf167918, v24
	v_add_f32_e32 v4, v30, v17
	v_add_f32_e32 v24, v1, v5
	v_fmac_f32_e32 v20, 0x3e9e377a, v23
	v_add_f32_e32 v31, v31, v44
	v_fmac_f32_e32 v25, 0x3e9e377a, v23
	v_fmamk_f32 v23, v0, 0xbf737871, v52
	v_sub_f32_e32 v30, v12, v16
	v_sub_f32_e32 v16, v1, v13
	;; [unrolled: 1-line block ×3, first 2 shown]
	v_fmac_f32_e32 v9, -0.5, v24
	v_add_f32_e32 v12, v4, v5
	v_fmac_f32_e32 v52, 0x3f737871, v0
	v_sub_f32_e32 v1, v13, v1
	v_sub_f32_e32 v5, v17, v5
	v_add_f32_e32 v13, v14, v18
	v_fmac_f32_e32 v23, 0xbf167918, v30
	v_add_f32_e32 v4, v16, v44
	v_fmamk_f32 v16, v30, 0x3f737871, v9
	v_fmac_f32_e32 v52, 0x3f167918, v30
	v_add_f32_e32 v1, v1, v5
	v_fmac_f32_e32 v9, 0xbf737871, v30
	v_add_f32_e32 v5, v10, v2
	v_fma_f32 v30, -0.5, v13, v10
	v_sub_f32_e32 v17, v3, v7
	v_fmac_f32_e32 v22, 0x3e9e377a, v31
	v_fmac_f32_e32 v8, 0x3e9e377a, v31
	;; [unrolled: 1-line block ×6, first 2 shown]
	v_add_f32_e32 v0, v5, v14
	v_fmamk_f32 v4, v17, 0x3f737871, v30
	v_add_f32_e32 v5, v2, v6
	v_sub_f32_e32 v24, v15, v19
	v_sub_f32_e32 v13, v2, v14
	;; [unrolled: 1-line block ×3, first 2 shown]
	v_fmac_f32_e32 v30, 0xbf737871, v17
	v_fmac_f32_e32 v16, 0x3e9e377a, v1
	;; [unrolled: 1-line block ×3, first 2 shown]
	v_fmac_f32_e32 v10, -0.5, v5
	v_fmac_f32_e32 v4, 0x3f167918, v24
	v_add_f32_e32 v1, v13, v31
	v_fmac_f32_e32 v30, 0xbf167918, v24
	v_add_f32_e32 v0, v0, v18
	v_fmamk_f32 v5, v24, 0xbf737871, v10
	v_sub_f32_e32 v31, v14, v2
	v_sub_f32_e32 v44, v18, v6
	v_fmac_f32_e32 v4, 0x3e9e377a, v1
	v_fmac_f32_e32 v10, 0x3f737871, v24
	;; [unrolled: 1-line block ×3, first 2 shown]
	v_add_f32_e32 v1, v11, v3
	v_add_f32_e32 v24, v15, v19
	;; [unrolled: 1-line block ×3, first 2 shown]
	v_fmac_f32_e32 v5, 0x3f167918, v17
	v_add_f32_e32 v0, v31, v44
	v_fmac_f32_e32 v10, 0xbf167918, v17
	v_add_f32_e32 v17, v3, v7
	v_add_f32_e32 v1, v1, v15
	v_fma_f32 v24, -0.5, v24, v11
	v_sub_f32_e32 v2, v2, v6
	v_fmac_f32_e32 v5, 0x3e9e377a, v0
	v_sub_f32_e32 v6, v14, v18
	v_fmac_f32_e32 v11, -0.5, v17
	v_fmac_f32_e32 v10, 0x3e9e377a, v0
	v_add_f32_e32 v0, v1, v19
	v_fmamk_f32 v1, v2, 0xbf737871, v24
	v_sub_f32_e32 v14, v3, v15
	v_sub_f32_e32 v17, v7, v19
	v_fmac_f32_e32 v24, 0x3f737871, v2
	v_fmamk_f32 v31, v6, 0x3f737871, v11
	v_sub_f32_e32 v3, v15, v3
	v_sub_f32_e32 v15, v19, v7
	v_fmac_f32_e32 v11, 0xbf737871, v6
	v_add_f32_e32 v18, v14, v17
	v_fmac_f32_e32 v24, 0x3f167918, v6
	v_fmac_f32_e32 v31, 0xbf167918, v2
	v_add_f32_e32 v3, v3, v15
	v_fmac_f32_e32 v11, 0x3f167918, v2
	v_mul_f32_e32 v2, 0x3f4f1bbd, v30
	v_fmac_f32_e32 v24, 0x3e9e377a, v18
	s_load_dwordx2 s[2:3], s[4:5], 0x8
	v_fmac_f32_e32 v1, 0xbf167918, v6
	v_add_f32_e32 v14, v0, v7
	v_fmac_f32_e32 v31, 0x3e9e377a, v3
	v_fmac_f32_e32 v11, 0x3e9e377a, v3
	v_mul_f32_e32 v0, 0x3e9e377a, v10
	v_fma_f32 v3, 0x3f167918, v24, -v2
	v_fmac_f32_e32 v1, 0x3e9e377a, v18
	v_mul_f32_e32 v15, 0x3f4f1bbd, v4
	v_mul_f32_e32 v17, 0x3f737871, v31
	v_fma_f32 v18, 0x3f737871, v11, -v0
	v_mul_f32_e32 v0, 0x3f4f1bbd, v24
	v_mul_f32_e32 v19, 0xbf167918, v4
	;; [unrolled: 1-line block ×4, first 2 shown]
	v_add_f32_e32 v44, v25, v3
	v_sub_f32_e32 v6, v25, v3
	v_mul_lo_u16 v11, v237, 10
	v_mov_b32_e32 v25, 3
	v_fmac_f32_e32 v15, 0x3f167918, v1
	v_fmac_f32_e32 v17, 0x3e9e377a, v5
	v_fma_f32 v7, 0xbf167918, v30, -v0
	v_fmac_f32_e32 v19, 0x3f4f1bbd, v1
	v_fmac_f32_e32 v24, 0x3e9e377a, v31
	v_fma_f32 v10, 0xbf737871, v10, -v2
	v_lshlrev_b32_sdwa v30, v25, v11 dst_sel:DWORD dst_unused:UNUSED_PAD src0_sel:DWORD src1_sel:WORD_0
	v_mul_u32_u24_e32 v11, 10, v171
	v_add_f32_e32 v63, v73, v75
	v_sub_f32_e32 v73, v73, v75
	v_add_f32_e32 v45, v52, v7
	v_sub_f32_e32 v46, v21, v13
	v_sub_f32_e32 v0, v20, v15
	;; [unrolled: 1-line block ×9, first 2 shown]
	v_lshlrev_b32_e32 v25, 3, v11
	v_mul_u32_u24_e32 v11, 10, v170
	s_waitcnt lgkmcnt(0)
	s_barrier
	buffer_gl0_inv
	ds_write_b128 v30, v[36:39]
	ds_write_b128 v30, v[32:35] offset:16
	ds_write_b128 v30, v[48:51] offset:32
	;; [unrolled: 1-line block ×3, first 2 shown]
	buffer_store_dword v30, off, s[16:19], 0 offset:216 ; 4-byte Folded Spill
	ds_write_b128 v30, v[58:61] offset:64
	ds_write_b128 v25, v[26:29]
	buffer_store_dword v11, off, s[16:19], 0 offset:272 ; 4-byte Folded Spill
	ds_write_b128 v25, v[40:43] offset:16
	ds_write_b128 v25, v[62:65] offset:32
	;; [unrolled: 1-line block ×3, first 2 shown]
	buffer_store_dword v25, off, s[16:19], 0 offset:212 ; 4-byte Folded Spill
	ds_write_b128 v25, v[70:73] offset:64
	s_and_saveexec_b32 s0, vcc_lo
	s_cbranch_execz .LBB0_7
; %bb.6:
	v_add_f32_e32 v11, v9, v10
	v_add_f32_e32 v10, v8, v18
	v_mul_u32_u24_e32 v8, 10, v170
	v_add_f32_e32 v9, v16, v24
	v_add_f32_e32 v16, v23, v19
	;; [unrolled: 1-line block ×5, first 2 shown]
	v_lshlrev_b32_e32 v12, 3, v8
	v_add_f32_e32 v8, v22, v17
	ds_write_b128 v12, v[13:16]
	ds_write_b128 v12, v[8:11] offset:16
	ds_write_b128 v12, v[44:47] offset:32
	;; [unrolled: 1-line block ×4, first 2 shown]
.LBB0_7:
	s_or_b32 exec_lo, exec_lo, s0
	v_add_nc_u32_e32 v8, 0x1400, v236
	s_waitcnt lgkmcnt(0)
	s_waitcnt_vscnt null, 0x0
	s_barrier
	buffer_gl0_inv
	ds_read2_b64 v[48:51], v236 offset1:90
	ds_read2_b64 v[64:67], v8 offset0:110 offset1:200
	v_add_nc_u32_e32 v8, 0x2c00, v236
	v_add_nc_u32_e32 v9, 0x400, v236
	v_add_nc_u32_e32 v10, 0x1800, v236
	v_add_nc_u32_e32 v11, 0x3000, v236
	v_add_nc_u32_e32 v12, 0x800, v236
	ds_read2_b64 v[76:79], v8 offset0:92 offset1:182
	ds_read2_b64 v[56:59], v9 offset0:52 offset1:142
	;; [unrolled: 1-line block ×5, first 2 shown]
	v_add_nc_u32_e32 v8, 0x2000, v236
	v_add_nc_u32_e32 v9, 0x3800, v236
	;; [unrolled: 1-line block ×5, first 2 shown]
	ds_read2_b64 v[92:95], v8 offset0:86 offset1:176
	ds_read2_b64 v[88:91], v9 offset0:68 offset1:158
	;; [unrolled: 1-line block ×5, first 2 shown]
	v_cmp_gt_u16_e64 s0, 30, v237
	s_and_saveexec_b32 s1, s0
	s_cbranch_execz .LBB0_9
; %bb.8:
	ds_read_b64 v[44:45], v236 offset:5760
	ds_read_b64 v[46:47], v236 offset:11760
	;; [unrolled: 1-line block ×3, first 2 shown]
.LBB0_9:
	s_or_b32 exec_lo, exec_lo, s1
	v_and_b32_e32 v8, 0xff, v237
	v_and_b32_e32 v98, 0xff, v171
	v_mov_b32_e32 v9, 0xcccd
	v_add_co_u32 v164, s1, 0x10e, v237
	v_mul_lo_u16 v8, 0xcd, v8
	v_mul_lo_u16 v10, 0xcd, v98
	v_mul_u32_u24_sdwa v11, v170, v9 dst_sel:DWORD dst_unused:UNUSED_PAD src0_sel:WORD_0 src1_sel:DWORD
	v_add_co_ci_u32_e64 v165, null, 0, 0, s1
	v_lshrrev_b16 v99, 11, v8
	v_lshrrev_b16 v100, 11, v10
	v_mul_u32_u24_sdwa v8, v164, v9 dst_sel:DWORD dst_unused:UNUSED_PAD src0_sel:WORD_0 src1_sel:DWORD
	v_lshrrev_b32_e32 v101, 19, v11
	v_add_co_u32 v160, s1, 0x168, v237
	v_mul_lo_u16 v10, v99, 10
	v_mul_lo_u16 v11, v100, 10
	v_lshrrev_b32_e32 v102, 19, v8
	v_mul_lo_u16 v12, v101, 10
	v_mov_b32_e32 v97, 3
	v_sub_nc_u16 v8, v237, v10
	v_sub_nc_u16 v10, v171, v11
	v_mul_lo_u16 v11, v102, 10
	v_sub_nc_u16 v103, v170, v12
	v_add_co_u32 v108, null, 0x21c, v237
	v_and_b32_e32 v104, 0xff, v8
	v_sub_nc_u16 v106, v164, v11
	v_lshlrev_b16 v8, 1, v103
	v_and_b32_e32 v105, 0xff, v10
	v_mul_u32_u24_sdwa v13, v160, v9 dst_sel:DWORD dst_unused:UNUSED_PAD src0_sel:WORD_0 src1_sel:DWORD
	v_lshlrev_b32_e32 v10, 4, v104
	v_lshlrev_b16 v11, 1, v106
	v_lshlrev_b32_sdwa v8, v97, v8 dst_sel:DWORD dst_unused:UNUSED_PAD src0_sel:DWORD src1_sel:WORD_0
	v_add_nc_u16 v109, v237, 0x1c2
	v_lshlrev_b32_e32 v12, 4, v105
	s_clause 0x1
	global_load_dwordx4 v[36:39], v10, s[2:3]
	global_load_dwordx4 v[28:31], v12, s[2:3]
	v_lshlrev_b32_sdwa v11, v97, v11 dst_sel:DWORD dst_unused:UNUSED_PAD src0_sel:DWORD src1_sel:WORD_0
	v_lshrrev_b32_e32 v107, 19, v13
	v_mul_u32_u24_sdwa v10, v109, v9 dst_sel:DWORD dst_unused:UNUSED_PAD src0_sel:WORD_0 src1_sel:DWORD
	s_clause 0x1
	global_load_dwordx4 v[20:23], v8, s[2:3]
	global_load_dwordx4 v[12:15], v11, s[2:3]
	v_add_nc_u16 v110, v237, 0x276
	v_mul_u32_u24_sdwa v8, v108, v9 dst_sel:DWORD dst_unused:UNUSED_PAD src0_sel:WORD_0 src1_sel:DWORD
	v_lshrrev_b32_e32 v112, 19, v10
	v_mul_lo_u16 v10, v107, 10
	v_add_nc_u16 v111, v237, 0x2d0
	v_mul_u32_u24_sdwa v11, v110, v9 dst_sel:DWORD dst_unused:UNUSED_PAD src0_sel:WORD_0 src1_sel:DWORD
	v_lshrrev_b32_e32 v113, 19, v8
	v_mul_lo_u16 v8, v112, 10
	v_sub_nc_u16 v114, v160, v10
	v_mul_u32_u24_sdwa v9, v111, v9 dst_sel:DWORD dst_unused:UNUSED_PAD src0_sel:WORD_0 src1_sel:DWORD
	v_lshrrev_b32_e32 v115, 19, v11
	v_mul_lo_u16 v10, v113, 10
	v_sub_nc_u16 v116, v109, v8
	v_lshlrev_b16 v8, 1, v114
	v_lshrrev_b32_e32 v117, 19, v9
	v_mul_lo_u16 v9, v115, 10
	v_sub_nc_u16 v118, v108, v10
	v_lshlrev_b16 v10, 1, v116
	v_lshlrev_b32_sdwa v8, v97, v8 dst_sel:DWORD dst_unused:UNUSED_PAD src0_sel:DWORD src1_sel:WORD_0
	v_mul_lo_u16 v11, v117, 10
	v_sub_nc_u16 v119, v110, v9
	v_lshlrev_b16 v9, 1, v118
	v_lshlrev_b32_sdwa v10, v97, v10 dst_sel:DWORD dst_unused:UNUSED_PAD src0_sel:DWORD src1_sel:WORD_0
	global_load_dwordx4 v[40:43], v8, s[2:3]
	v_sub_nc_u16 v120, v111, v11
	v_mov_b32_e32 v121, 30
	v_lshlrev_b32_sdwa v9, v97, v9 dst_sel:DWORD dst_unused:UNUSED_PAD src0_sel:DWORD src1_sel:WORD_0
	global_load_dwordx4 v[32:35], v10, s[2:3]
	v_mad_u16 v101, v101, 30, v103
	v_lshlrev_b16 v10, 1, v120
	v_mul_u32_u24_sdwa v99, v99, v121 dst_sel:DWORD dst_unused:UNUSED_PAD src0_sel:WORD_0 src1_sel:DWORD
	global_load_dwordx4 v[24:27], v9, s[2:3]
	v_lshlrev_b16 v8, 1, v119
	v_mul_u32_u24_sdwa v100, v100, v121 dst_sel:DWORD dst_unused:UNUSED_PAD src0_sel:WORD_0 src1_sel:DWORD
	v_lshlrev_b32_sdwa v9, v97, v10 dst_sel:DWORD dst_unused:UNUSED_PAD src0_sel:DWORD src1_sel:WORD_0
	v_mad_u16 v102, v102, 30, v106
	v_mad_u16 v103, v107, 30, v114
	v_lshlrev_b32_sdwa v8, v97, v8 dst_sel:DWORD dst_unused:UNUSED_PAD src0_sel:DWORD src1_sel:WORD_0
	s_clause 0x1
	global_load_dwordx4 v[16:19], v8, s[2:3]
	global_load_dwordx4 v[8:11], v9, s[2:3]
	v_mad_u16 v106, v112, 30, v116
	v_mad_u16 v107, v113, 30, v118
	;; [unrolled: 1-line block ×4, first 2 shown]
	v_add_lshl_u32 v153, v99, v104, 3
	v_add_lshl_u32 v152, v100, v105, 3
	v_lshlrev_b32_sdwa v151, v97, v101 dst_sel:DWORD dst_unused:UNUSED_PAD src0_sel:DWORD src1_sel:WORD_0
	v_lshlrev_b32_sdwa v150, v97, v102 dst_sel:DWORD dst_unused:UNUSED_PAD src0_sel:DWORD src1_sel:WORD_0
	buffer_store_dword v113, off, s[16:19], 0 offset:176 ; 4-byte Folded Spill
	v_lshlrev_b32_sdwa v149, v97, v103 dst_sel:DWORD dst_unused:UNUSED_PAD src0_sel:DWORD src1_sel:WORD_0
	v_lshlrev_b32_sdwa v148, v97, v106 dst_sel:DWORD dst_unused:UNUSED_PAD src0_sel:DWORD src1_sel:WORD_0
	;; [unrolled: 1-line block ×4, first 2 shown]
	v_add_co_ci_u32_e64 v161, null, 0, 0, s1
	s_waitcnt vmcnt(0) lgkmcnt(0)
	s_waitcnt_vscnt null, 0x0
	s_barrier
	buffer_gl0_inv
	buffer_store_dword v153, off, s[16:19], 0 offset:208 ; 4-byte Folded Spill
	v_mul_f32_e32 v101, v65, v37
	v_mul_f32_e32 v102, v64, v37
	;; [unrolled: 1-line block ×16, first 2 shown]
	v_fma_f32 v101, v64, v36, -v101
	v_fmac_f32_e32 v102, v65, v36
	v_fma_f32 v65, v76, v38, -v103
	v_fmac_f32_e32 v104, v77, v38
	;; [unrolled: 2-line block ×7, first 2 shown]
	v_mul_f32_e32 v121, v93, v41
	v_mul_f32_e32 v122, v92, v41
	;; [unrolled: 1-line block ×12, first 2 shown]
	v_fma_f32 v74, v70, v14, -v119
	v_fmac_f32_e32 v120, v71, v14
	v_fma_f32 v69, v92, v40, -v121
	v_fmac_f32_e32 v122, v93, v40
	;; [unrolled: 2-line block ×3, first 2 shown]
	v_mul_f32_e32 v133, v87, v17
	v_mul_f32_e32 v134, v86, v17
	;; [unrolled: 1-line block ×8, first 2 shown]
	v_fma_f32 v70, v94, v32, -v125
	v_fmac_f32_e32 v126, v95, v32
	v_fma_f32 v76, v90, v34, -v127
	v_fmac_f32_e32 v128, v91, v34
	;; [unrolled: 2-line block ×8, first 2 shown]
	v_add_f32_e32 v0, v48, v101
	v_add_f32_e32 v1, v101, v65
	;; [unrolled: 1-line block ×3, first 2 shown]
	v_sub_f32_e32 v83, v101, v65
	v_add_f32_e32 v85, v66, v67
	v_add_f32_e32 v88, v106, v112
	;; [unrolled: 1-line block ×11, first 2 shown]
	v_sub_f32_e32 v131, v130, v132
	v_add_f32_e32 v133, v61, v130
	v_add_f32_e32 v130, v130, v132
	;; [unrolled: 1-line block ×3, first 2 shown]
	v_sub_f32_e32 v139, v134, v136
	v_add_f32_e32 v140, v63, v134
	v_add_f32_e32 v134, v134, v136
	;; [unrolled: 1-line block ×4, first 2 shown]
	v_sub_f32_e32 v82, v102, v104
	v_add_f32_e32 v80, v49, v102
	v_add_f32_e32 v84, v50, v66
	v_sub_f32_e32 v86, v106, v112
	v_add_f32_e32 v87, v51, v106
	v_sub_f32_e32 v89, v66, v67
	;; [unrolled: 2-line block ×12, first 2 shown]
	v_sub_f32_e32 v143, v100, v99
	v_sub_f32_e32 v145, v64, v46
	v_add_f32_e32 v47, v0, v65
	v_fma_f32 v65, -0.5, v1, v48
	v_fma_f32 v66, -0.5, v81, v49
	v_fma_f32 v50, -0.5, v85, v50
	v_fmac_f32_e32 v51, -0.5, v88
	v_fma_f32 v56, -0.5, v91, v56
	v_fma_f32 v57, -0.5, v94, v57
	v_fma_f32 v58, -0.5, v101, v58
	v_fmac_f32_e32 v59, -0.5, v105
	;; [unrolled: 4-line block ×4, first 2 shown]
	v_fma_f32 v0, -0.5, v142, v44
	v_fma_f32 v1, -0.5, v144, v45
	v_add_f32_e32 v48, v80, v104
	v_add_f32_e32 v67, v84, v67
	v_add_f32_e32 v68, v87, v112
	v_add_f32_e32 v69, v90, v73
	v_add_f32_e32 v70, v93, v116
	v_fmamk_f32 v81, v82, 0x3f5db3d7, v65
	v_fmac_f32_e32 v65, 0xbf5db3d7, v82
	v_fmamk_f32 v82, v83, 0xbf5db3d7, v66
	v_fmac_f32_e32 v66, 0x3f5db3d7, v83
	;; [unrolled: 2-line block ×18, first 2 shown]
	v_add_f32_e32 v71, v72, v74
	v_add_f32_e32 v72, v103, v120
	;; [unrolled: 1-line block ×10, first 2 shown]
	ds_write2_b64 v153, v[47:48], v[81:82] offset1:10
	ds_write_b64 v153, v[65:66] offset:160
	ds_write2_b64 v152, v[67:68], v[83:84] offset1:10
	buffer_store_dword v152, off, s[16:19], 0 offset:204 ; 4-byte Folded Spill
	ds_write_b64 v152, v[50:51] offset:160
	ds_write2_b64 v151, v[69:70], v[85:86] offset1:10
	buffer_store_dword v151, off, s[16:19], 0 offset:200 ; 4-byte Folded Spill
	;; [unrolled: 3-line block ×7, first 2 shown]
	ds_write_b64 v146, v[62:63] offset:160
	s_and_saveexec_b32 s1, s0
	s_cbranch_execz .LBB0_11
; %bb.10:
	buffer_load_dword v47, off, s[16:19], 0 offset:176 ; 4-byte Folded Reload
	v_add_f32_e32 v45, v45, v100
	v_add_f32_e32 v44, v44, v64
	;; [unrolled: 1-line block ×4, first 2 shown]
	s_waitcnt vmcnt(0)
	v_lshlrev_b32_sdwa v47, v97, v47 dst_sel:DWORD dst_unused:UNUSED_PAD src0_sel:DWORD src1_sel:WORD_0
	ds_write2_b64 v47, v[44:45], v[162:163] offset1:10
	ds_write_b64 v47, v[0:1] offset:160
.LBB0_11:
	s_or_b32 exec_lo, exec_lo, s1
	v_and_b32_e32 v44, 0xff, v237
	v_mul_lo_u16 v45, 0x89, v98
	s_waitcnt lgkmcnt(0)
	s_waitcnt_vscnt null, 0x0
	s_barrier
	buffer_gl0_inv
	v_mul_lo_u16 v44, 0x89, v44
	v_lshrrev_b16 v88, 12, v45
	v_mov_b32_e32 v62, 0x8889
	v_add_nc_u32_e32 v90, 0x3800, v236
	v_add_nc_u32_e32 v92, 0x1800, v236
	v_lshrrev_b16 v60, 12, v44
	v_mul_lo_u16 v44, v88, 30
	v_mul_u32_u24_sdwa v63, v170, v62 dst_sel:DWORD dst_unused:UNUSED_PAD src0_sel:WORD_0 src1_sel:DWORD
	v_mul_u32_u24_sdwa v64, v164, v62 dst_sel:DWORD dst_unused:UNUSED_PAD src0_sel:WORD_0 src1_sel:DWORD
	;; [unrolled: 1-line block ×3, first 2 shown]
	v_mul_lo_u16 v45, v60, 30
	v_sub_nc_u16 v44, v171, v44
	v_lshrrev_b32_e32 v95, 20, v63
	v_add_nc_u32_e32 v91, 0x800, v236
	v_add_nc_u32_e32 v70, 0x2400, v236
	v_sub_nc_u16 v45, v237, v45
	v_and_b32_e32 v89, 0xff, v44
	v_mul_lo_u16 v66, v95, 30
	v_lshrrev_b32_e32 v140, 20, v64
	v_lshrrev_b32_e32 v141, 20, v62
	v_and_b32_e32 v61, 0xff, v45
	v_lshlrev_b32_e32 v44, 5, v89
	v_sub_nc_u16 v143, v170, v66
	v_mul_lo_u16 v71, v140, 30
	v_mul_lo_u16 v72, v141, 30
	v_lshlrev_b32_e32 v52, 5, v61
	v_mov_b32_e32 v142, 0x96
	v_add_nc_u32_e32 v172, 0x1000, v236
	s_clause 0x3
	global_load_dwordx4 v[48:51], v44, s[2:3] offset:160
	global_load_dwordx4 v[44:47], v44, s[2:3] offset:176
	;; [unrolled: 1-line block ×4, first 2 shown]
	ds_read2_b64 v[66:69], v90 offset0:8 offset1:98
	ds_read2_b64 v[62:65], v92 offset0:132 offset1:222
	;; [unrolled: 1-line block ×4, first 2 shown]
	v_sub_nc_u16 v144, v164, v71
	v_sub_nc_u16 v145, v160, v72
	ds_read2_b64 v[98:101], v236 offset1:90
	v_lshlrev_b16 v71, 5, v143
	v_mul_u32_u24_sdwa v60, v60, v142 dst_sel:DWORD dst_unused:UNUSED_PAD src0_sel:WORD_0 src1_sel:DWORD
	v_lshlrev_b16 v72, 5, v144
	v_lshlrev_b16 v73, 5, v145
	v_add_nc_u32_e32 v173, 0x2800, v236
	v_and_b32_e32 v70, 0xffff, v71
	v_add_lshl_u32 v247, v60, v61, 3
	v_and_b32_e32 v71, 0xffff, v72
	v_and_b32_e32 v72, 0xffff, v73
	v_add_nc_u32_e32 v174, 0x400, v236
	v_add_co_u32 v60, s1, s2, v70
	v_add_co_ci_u32_e64 v61, null, s3, 0, s1
	v_add_co_u32 v70, s1, s2, v71
	v_add_co_ci_u32_e64 v71, null, s3, 0, s1
	v_add_nc_u32_e32 v175, 0x2000, v236
	v_add_nc_u32_e32 v176, 0x3c00, v236
	;; [unrolled: 1-line block ×4, first 2 shown]
	v_mad_u16 v95, 0x96, v95, v143
	s_waitcnt vmcnt(3) lgkmcnt(3)
	v_mul_f32_e32 v73, v65, v51
	s_waitcnt vmcnt(2)
	v_mul_f32_e32 v74, v69, v47
	v_mul_f32_e32 v147, v68, v47
	s_waitcnt vmcnt(1)
	v_mul_f32_e32 v75, v63, v59
	;; [unrolled: 3-line block ×3, first 2 shown]
	v_fma_f32 v151, v68, v46, -v74
	s_waitcnt lgkmcnt(1)
	v_mul_f32_e32 v68, v105, v53
	v_mul_f32_e32 v152, v104, v53
	;; [unrolled: 1-line block ×4, first 2 shown]
	v_fma_f32 v149, v64, v50, -v73
	v_mul_f32_e32 v64, v67, v55
	v_fma_f32 v154, v62, v58, -v75
	v_fmac_f32_e32 v148, v63, v58
	v_fma_f32 v157, v104, v52, -v68
	v_fmac_f32_e32 v150, v67, v54
	v_fmac_f32_e32 v152, v105, v52
	;; [unrolled: 1-line block ×5, first 2 shown]
	v_mul_f32_e32 v65, v87, v57
	v_fma_f32 v155, v66, v54, -v64
	v_add_f32_e32 v64, v154, v157
	v_sub_f32_e32 v68, v153, v148
	v_sub_f32_e32 v69, v150, v152
	v_fma_f32 v156, v86, v56, -v65
	s_waitcnt lgkmcnt(0)
	v_add_f32_e32 v66, v99, v153
	v_fma_f32 v86, -0.5, v64, v98
	v_add_co_u32 v64, s1, s2, v72
	v_add_f32_e32 v167, v68, v69
	s_clause 0x3
	global_load_dwordx4 v[80:83], v[60:61], off offset:160
	global_load_dwordx4 v[76:79], v[60:61], off offset:176
	global_load_dwordx4 v[72:75], v[70:71], off offset:160
	global_load_dwordx4 v[68:71], v[70:71], off offset:176
	v_add_f32_e32 v65, v98, v156
	v_sub_f32_e32 v62, v156, v154
	v_sub_f32_e32 v63, v155, v157
	v_add_f32_e32 v66, v66, v148
	v_add_f32_e32 v67, v148, v152
	v_add_f32_e32 v65, v65, v154
	ds_read_b64 v[138:139], v236 offset:17280
	v_add_f32_e32 v159, v62, v63
	v_add_f32_e32 v63, v66, v152
	v_fma_f32 v87, -0.5, v67, v99
	v_add_f32_e32 v62, v65, v157
	v_add_co_ci_u32_e64 v65, null, s3, 0, s1
	v_add_f32_e32 v94, v63, v150
	v_sub_f32_e32 v158, v153, v150
	v_add_f32_e32 v93, v62, v155
	s_clause 0x1
	global_load_dwordx4 v[60:63], v[64:65], off offset:176
	global_load_dwordx4 v[64:67], v[64:65], off offset:160
	v_sub_f32_e32 v166, v156, v155
	v_sub_f32_e32 v168, v148, v152
	v_fmamk_f32 v136, v158, 0x3f737871, v86
	v_sub_f32_e32 v169, v154, v157
	ds_read2_b64 v[104:107], v172 offset0:28 offset1:118
	ds_read2_b64 v[112:115], v173 offset0:160 offset1:250
	ds_read2_b64 v[116:119], v174 offset0:52 offset1:142
	ds_read2_b64 v[120:123], v175 offset0:56 offset1:146
	ds_read2_b64 v[124:127], v176 offset0:60 offset1:150
	ds_read2_b64 v[128:131], v177 offset0:80 offset1:170
	ds_read2_b64 v[132:135], v178 offset0:84 offset1:174
	v_fmamk_f32 v137, v166, 0xbf737871, v87
	s_waitcnt vmcnt(0) lgkmcnt(0)
	v_fmac_f32_e32 v136, 0x3f167918, v168
	s_barrier
	buffer_gl0_inv
	v_fmac_f32_e32 v137, 0xbf167918, v169
	v_fmac_f32_e32 v86, 0xbf737871, v158
	;; [unrolled: 1-line block ×7, first 2 shown]
	ds_write2_b64 v247, v[93:94], v[136:137] offset1:30
	v_sub_f32_e32 v93, v154, v156
	v_sub_f32_e32 v94, v157, v155
	v_add_f32_e32 v136, v156, v155
	v_sub_f32_e32 v137, v148, v153
	v_add_f32_e32 v148, v153, v150
	;; [unrolled: 2-line block ×3, first 2 shown]
	v_fma_f32 v93, -0.5, v136, v98
	v_fmac_f32_e32 v86, 0x3e9e377a, v159
	v_fma_f32 v94, -0.5, v148, v99
	v_fmac_f32_e32 v87, 0x3e9e377a, v167
	v_add_f32_e32 v136, v137, v150
	v_fmamk_f32 v98, v168, 0xbf737871, v93
	v_fmac_f32_e32 v93, 0x3f737871, v168
	v_fmamk_f32 v99, v169, 0x3f737871, v94
	v_fmac_f32_e32 v94, 0xbf737871, v169
	ds_write_b64 v247, v[86:87] offset:960
	v_fmac_f32_e32 v98, 0x3f167918, v158
	v_fmac_f32_e32 v93, 0xbf167918, v158
	;; [unrolled: 1-line block ×4, first 2 shown]
	v_mul_u32_u24_sdwa v86, v88, v142 dst_sel:DWORD dst_unused:UNUSED_PAD src0_sel:WORD_0 src1_sel:DWORD
	v_fmac_f32_e32 v98, 0x3e9e377a, v152
	v_fmac_f32_e32 v93, 0x3e9e377a, v152
	;; [unrolled: 1-line block ×4, first 2 shown]
	v_add_lshl_u32 v148, v86, v89, 3
	v_mul_f32_e32 v86, v113, v45
	ds_write2_b64 v247, v[98:99], v[93:94] offset0:60 offset1:90
	v_mul_f32_e32 v99, v112, v45
	v_fma_f32 v93, v112, v44, -v86
	v_mul_f32_e32 v86, v105, v49
	buffer_store_dword v148, off, s[16:19], 0 offset:228 ; 4-byte Folded Spill
	v_fmac_f32_e32 v99, v113, v44
	v_sub_f32_e32 v88, v93, v151
	v_fma_f32 v94, v104, v48, -v86
	v_add_f32_e32 v86, v149, v93
	v_mul_f32_e32 v104, v104, v49
	v_sub_f32_e32 v112, v99, v147
	v_sub_f32_e32 v113, v146, v99
	v_add_f32_e32 v87, v94, v151
	v_add_f32_e32 v98, v100, v94
	v_fma_f32 v86, -0.5, v86, v100
	v_fmac_f32_e32 v104, v105, v48
	v_sub_f32_e32 v137, v149, v93
	v_fma_f32 v100, -0.5, v87, v100
	v_sub_f32_e32 v87, v149, v94
	v_sub_f32_e32 v142, v94, v151
	v_add_f32_e32 v105, v101, v104
	v_sub_f32_e32 v136, v104, v147
	v_sub_f32_e32 v94, v94, v149
	v_add_f32_e32 v89, v87, v88
	v_add_f32_e32 v87, v146, v99
	;; [unrolled: 1-line block ×3, first 2 shown]
	v_fma_f32 v87, -0.5, v87, v101
	v_fmac_f32_e32 v101, -0.5, v88
	v_sub_f32_e32 v88, v146, v104
	v_add_f32_e32 v112, v88, v112
	v_fmamk_f32 v88, v113, 0xbf737871, v100
	v_fmac_f32_e32 v100, 0x3f737871, v113
	v_fmac_f32_e32 v88, 0x3f167918, v136
	;; [unrolled: 1-line block ×5, first 2 shown]
	v_fmamk_f32 v89, v137, 0x3f737871, v101
	v_fmac_f32_e32 v101, 0xbf737871, v137
	v_fmac_f32_e32 v89, 0xbf167918, v142
	v_fmac_f32_e32 v101, 0x3f167918, v142
	v_fmac_f32_e32 v89, 0x3e9e377a, v112
	v_fmac_f32_e32 v101, 0x3e9e377a, v112
	ds_write2_b64 v148, v[88:89], v[100:101] offset0:60 offset1:90
	v_add_f32_e32 v89, v105, v146
	v_add_f32_e32 v89, v89, v99
	v_sub_f32_e32 v99, v147, v99
	v_add_f32_e32 v89, v89, v147
	v_mul_f32_e32 v88, v107, v81
	v_mul_f32_e32 v101, v106, v81
	v_fma_f32 v100, v106, v80, -v88
	v_mul_f32_e32 v88, v115, v77
	v_fmac_f32_e32 v101, v107, v80
	v_mul_f32_e32 v107, v114, v77
	v_fma_f32 v106, v114, v76, -v88
	v_mul_f32_e32 v88, v121, v83
	v_fmac_f32_e32 v107, v115, v76
	;; [unrolled: 4-line block ×5, first 2 shown]
	v_sub_f32_e32 v125, v112, v106
	v_mul_f32_e32 v124, v126, v71
	v_sub_f32_e32 v105, v100, v121
	v_fma_f32 v123, v126, v70, -v88
	v_add_f32_e32 v88, v98, v149
	v_sub_f32_e32 v98, v104, v146
	v_lshlrev_b32_sdwa v126, v97, v95 dst_sel:DWORD dst_unused:UNUSED_PAD src0_sel:DWORD src1_sel:WORD_0
	v_add_f32_e32 v95, v101, v122
	v_fmac_f32_e32 v124, v127, v70
	v_add_f32_e32 v88, v88, v93
	v_sub_f32_e32 v93, v151, v93
	v_add_f32_e32 v98, v98, v99
	buffer_store_dword v126, off, s[16:19], 0 offset:232 ; 4-byte Folded Spill
	v_add_f32_e32 v88, v88, v151
	v_add_f32_e32 v104, v94, v93
	v_fmamk_f32 v93, v136, 0x3f737871, v86
	v_fmamk_f32 v94, v142, 0xbf737871, v87
	v_fmac_f32_e32 v86, 0xbf737871, v136
	v_fmac_f32_e32 v87, 0x3f737871, v142
	v_fmac_f32_e32 v93, 0x3f167918, v113
	v_fmac_f32_e32 v94, 0xbf167918, v137
	v_fmac_f32_e32 v86, 0xbf167918, v113
	v_fmac_f32_e32 v87, 0x3f167918, v137
	v_sub_f32_e32 v113, v114, v107
	v_fmac_f32_e32 v93, 0x3e9e377a, v104
	v_fmac_f32_e32 v94, 0x3e9e377a, v98
	;; [unrolled: 1-line block ×4, first 2 shown]
	v_sub_f32_e32 v104, v101, v122
	ds_write2_b64 v148, v[88:89], v[93:94] offset1:30
	v_sub_f32_e32 v88, v101, v114
	ds_write_b64 v148, v[86:87] offset:960
	v_sub_f32_e32 v86, v100, v112
	v_sub_f32_e32 v87, v121, v106
	;; [unrolled: 1-line block ×3, first 2 shown]
	v_add_f32_e32 v98, v86, v87
	v_add_f32_e32 v86, v112, v106
	v_add_f32_e32 v87, v114, v107
	v_add_f32_e32 v99, v88, v89
	v_add_f32_e32 v88, v116, v100
	v_add_f32_e32 v89, v117, v101
	v_fma_f32 v86, -0.5, v86, v116
	v_fma_f32 v87, -0.5, v87, v117
	v_add_f32_e32 v88, v88, v112
	v_add_f32_e32 v89, v89, v114
	v_fmamk_f32 v93, v104, 0x3f737871, v86
	v_fmamk_f32 v94, v105, 0xbf737871, v87
	v_fmac_f32_e32 v86, 0xbf737871, v104
	v_add_f32_e32 v88, v88, v106
	v_add_f32_e32 v89, v89, v107
	v_fmac_f32_e32 v93, 0x3f167918, v113
	v_fmac_f32_e32 v94, 0xbf167918, v125
	;; [unrolled: 1-line block ×3, first 2 shown]
	v_add_f32_e32 v88, v88, v121
	v_add_f32_e32 v89, v89, v122
	v_fmac_f32_e32 v93, 0x3e9e377a, v98
	v_fmac_f32_e32 v94, 0x3e9e377a, v99
	;; [unrolled: 1-line block ×4, first 2 shown]
	ds_write2_b64 v126, v[88:89], v[93:94] offset1:30
	v_sub_f32_e32 v88, v112, v100
	v_sub_f32_e32 v89, v106, v121
	v_add_f32_e32 v93, v100, v121
	v_sub_f32_e32 v94, v114, v101
	v_sub_f32_e32 v100, v107, v122
	v_fmac_f32_e32 v86, 0x3e9e377a, v98
	v_add_f32_e32 v101, v88, v89
	v_fma_f32 v88, -0.5, v93, v116
	v_fma_f32 v89, -0.5, v95, v117
	v_add_f32_e32 v95, v94, v100
	v_fmac_f32_e32 v87, 0x3e9e377a, v99
	v_mul_f32_e32 v99, v132, v69
	v_fmamk_f32 v93, v113, 0xbf737871, v88
	v_fmac_f32_e32 v88, 0x3f737871, v113
	v_fmamk_f32 v94, v125, 0x3f737871, v89
	v_fmac_f32_e32 v89, 0xbf737871, v125
	ds_write_b64 v126, v[86:87] offset:960
	v_fmac_f32_e32 v93, 0x3f167918, v104
	v_fmac_f32_e32 v88, 0xbf167918, v104
	;; [unrolled: 1-line block ×4, first 2 shown]
	v_mul_f32_e32 v86, v133, v69
	v_fmac_f32_e32 v93, 0x3e9e377a, v101
	v_fmac_f32_e32 v88, 0x3e9e377a, v101
	;; [unrolled: 1-line block ×4, first 2 shown]
	v_mul_f32_e32 v100, v128, v73
	v_fmac_f32_e32 v99, v133, v68
	v_mul_f32_e32 v116, v134, v61
	v_mul_f32_e32 v113, v130, v65
	ds_write2_b64 v126, v[93:94], v[88:89] offset0:60 offset1:90
	v_fma_f32 v94, v132, v68, -v86
	v_mul_f32_e32 v86, v129, v73
	v_fmac_f32_e32 v100, v129, v72
	v_sub_f32_e32 v104, v99, v124
	v_sub_f32_e32 v105, v120, v99
	;; [unrolled: 1-line block ×3, first 2 shown]
	v_fma_f32 v95, v128, v72, -v86
	v_add_f32_e32 v86, v115, v94
	v_add_f32_e32 v101, v119, v100
	v_sub_f32_e32 v106, v100, v124
	v_sub_f32_e32 v107, v115, v94
	v_add_f32_e32 v87, v95, v123
	v_add_f32_e32 v98, v118, v95
	v_fma_f32 v86, -0.5, v86, v118
	v_sub_f32_e32 v112, v95, v123
	v_mad_u16 v93, 0x96, v140, v144
	v_fma_f32 v118, -0.5, v87, v118
	v_sub_f32_e32 v87, v115, v95
	v_fmac_f32_e32 v116, v135, v60
	v_fmac_f32_e32 v113, v131, v64
	v_lshlrev_b32_sdwa v117, v97, v93 dst_sel:DWORD dst_unused:UNUSED_PAD src0_sel:DWORD src1_sel:WORD_0
	v_sub_f32_e32 v93, v95, v115
	v_add_f32_e32 v89, v87, v88
	v_add_f32_e32 v87, v120, v99
	;; [unrolled: 1-line block ×3, first 2 shown]
	v_sub_f32_e32 v95, v100, v120
	buffer_store_dword v117, off, s[16:19], 0 offset:236 ; 4-byte Folded Spill
	v_fma_f32 v87, -0.5, v87, v119
	v_fmac_f32_e32 v119, -0.5, v88
	v_sub_f32_e32 v88, v120, v100
	v_mad_u16 v100, 0x96, v141, v145
	v_add_f32_e32 v104, v88, v104
	v_fmamk_f32 v88, v105, 0xbf737871, v118
	v_fmac_f32_e32 v118, 0x3f737871, v105
	v_fmac_f32_e32 v88, 0x3f167918, v106
	;; [unrolled: 1-line block ×5, first 2 shown]
	v_fmamk_f32 v89, v107, 0x3f737871, v119
	v_fmac_f32_e32 v119, 0xbf737871, v107
	v_fmac_f32_e32 v89, 0xbf167918, v112
	;; [unrolled: 1-line block ×5, first 2 shown]
	ds_write2_b64 v117, v[88:89], v[118:119] offset0:60 offset1:90
	v_mul_f32_e32 v88, v131, v65
	v_add_f32_e32 v89, v101, v120
	v_fma_f32 v104, v130, v64, -v88
	v_mul_f32_e32 v88, v103, v67
	v_add_f32_e32 v89, v89, v99
	v_fma_f32 v114, v102, v66, -v88
	v_mul_f32_e32 v102, v102, v67
	v_mul_f32_e32 v88, v135, v61
	v_add_f32_e32 v89, v89, v124
	v_fmac_f32_e32 v102, v103, v66
	v_fma_f32 v103, v134, v60, -v88
	v_add_f32_e32 v88, v98, v115
	v_sub_f32_e32 v98, v124, v99
	v_sub_f32_e32 v101, v114, v103
	v_add_f32_e32 v88, v88, v94
	v_sub_f32_e32 v94, v123, v94
	v_add_f32_e32 v95, v95, v98
	v_add_f32_e32 v98, v85, v113
	;; [unrolled: 1-line block ×4, first 2 shown]
	v_fmamk_f32 v93, v106, 0x3f737871, v86
	v_fmamk_f32 v94, v112, 0xbf737871, v87
	v_fmac_f32_e32 v86, 0xbf737871, v106
	v_fmac_f32_e32 v87, 0x3f737871, v112
	v_add_f32_e32 v98, v98, v102
	v_fmac_f32_e32 v93, 0x3f167918, v105
	v_fmac_f32_e32 v94, 0xbf167918, v107
	;; [unrolled: 1-line block ×4, first 2 shown]
	v_add_f32_e32 v98, v98, v116
	v_fmac_f32_e32 v93, 0x3e9e377a, v99
	v_fmac_f32_e32 v94, 0x3e9e377a, v95
	;; [unrolled: 1-line block ×4, first 2 shown]
	v_sub_f32_e32 v95, v102, v116
	ds_write2_b64 v117, v[88:89], v[93:94] offset1:30
	v_mul_f32_e32 v88, v139, v63
	v_mul_f32_e32 v93, v138, v63
	ds_write_b64 v117, v[86:87] offset:960
	v_add_f32_e32 v86, v114, v103
	v_add_f32_e32 v89, v84, v104
	v_fma_f32 v88, v138, v62, -v88
	v_fmac_f32_e32 v93, v139, v62
	v_fma_f32 v166, -0.5, v86, v84
	v_sub_f32_e32 v86, v114, v104
	v_add_f32_e32 v87, v104, v88
	v_sub_f32_e32 v94, v113, v93
	v_sub_f32_e32 v99, v116, v93
	;; [unrolled: 1-line block ×3, first 2 shown]
	v_add_f32_e32 v89, v89, v114
	v_fma_f32 v84, -0.5, v87, v84
	v_sub_f32_e32 v87, v103, v88
	v_add_f32_e32 v89, v89, v103
	v_sub_f32_e32 v103, v88, v103
	v_add_f32_e32 v87, v86, v87
	v_fmamk_f32 v86, v95, 0xbf737871, v84
	v_fmac_f32_e32 v84, 0x3f737871, v95
	v_add_f32_e32 v88, v89, v88
	v_add_f32_e32 v89, v98, v93
	v_sub_f32_e32 v98, v113, v102
	v_fmac_f32_e32 v86, 0x3f167918, v94
	v_fmac_f32_e32 v84, 0xbf167918, v94
	;; [unrolled: 1-line block ×4, first 2 shown]
	v_add_f32_e32 v87, v102, v116
	v_fma_f32 v167, -0.5, v87, v85
	v_add_f32_e32 v87, v113, v93
	v_fmac_f32_e32 v85, -0.5, v87
	v_sub_f32_e32 v87, v102, v113
	v_sub_f32_e32 v102, v93, v116
	v_fmamk_f32 v93, v94, 0x3f737871, v166
	v_fmac_f32_e32 v166, 0xbf737871, v94
	v_fmamk_f32 v94, v105, 0xbf737871, v167
	v_add_f32_e32 v99, v87, v99
	v_fmamk_f32 v87, v101, 0x3f737871, v85
	v_fmac_f32_e32 v85, 0xbf737871, v101
	v_fmac_f32_e32 v167, 0x3f737871, v105
	v_add_f32_e32 v98, v98, v102
	v_fmac_f32_e32 v93, 0x3f167918, v95
	v_fmac_f32_e32 v87, 0xbf167918, v105
	;; [unrolled: 1-line block ×8, first 2 shown]
	v_sub_f32_e32 v99, v104, v114
	v_lshlrev_b32_sdwa v95, v97, v100 dst_sel:DWORD dst_unused:UNUSED_PAD src0_sel:DWORD src1_sel:WORD_0
	v_fmac_f32_e32 v94, 0x3e9e377a, v98
	v_fmac_f32_e32 v167, 0x3e9e377a, v98
	v_add_f32_e32 v99, v99, v103
	v_fmac_f32_e32 v93, 0x3e9e377a, v99
	v_fmac_f32_e32 v166, 0x3e9e377a, v99
	ds_write2_b64 v95, v[86:87], v[84:85] offset0:60 offset1:90
	ds_write2_b64 v95, v[88:89], v[93:94] offset1:30
	v_add_nc_u32_e32 v84, 0x2c00, v236
	buffer_store_dword v95, off, s[16:19], 0 offset:240 ; 4-byte Folded Spill
	ds_write_b64 v95, v[166:167] offset:960
	s_waitcnt lgkmcnt(0)
	s_waitcnt_vscnt null, 0x0
	s_barrier
	buffer_gl0_inv
	ds_read2_b64 v[100:103], v177 offset0:110 offset1:200
	ds_read2_b64 v[84:87], v84 offset0:92 offset1:182
	;; [unrolled: 1-line block ×11, first 2 shown]
	ds_read2_b64 v[148:151], v236 offset1:90
	s_and_saveexec_b32 s1, s0
	s_cbranch_execz .LBB0_13
; %bb.12:
	ds_read_b64 v[166:167], v236 offset:5760
	ds_read_b64 v[162:163], v236 offset:11760
	;; [unrolled: 1-line block ×3, first 2 shown]
.LBB0_13:
	s_or_b32 exec_lo, exec_lo, s1
	v_add_co_u32 v88, s1, 0xffffffc4, v237
	v_add_co_ci_u32_e64 v89, null, 0, -1, s1
	v_cmp_gt_u16_e64 s1, 60, v237
	v_lshlrev_b32_e32 v92, 4, v237
	v_lshrrev_b16 v90, 1, v164
	v_mov_b32_e32 v112, 0xda75
	v_cndmask_b32_e64 v169, v89, v96, s1
	s_clause 0x1
	global_load_dwordx4 v[96:99], v92, s[2:3] offset:1120
	global_load_dwordx4 v[92:95], v92, s[2:3] offset:1600
	v_cndmask_b32_e64 v168, v88, v171, s1
	v_mul_u32_u24_sdwa v90, v90, v112 dst_sel:DWORD dst_unused:UNUSED_PAD src0_sel:WORD_0 src1_sel:DWORD
	v_lshlrev_b64 v[88:89], 4, v[168:169]
	v_lshrrev_b32_e32 v169, 22, v90
	v_mul_lo_u16 v90, 0x96, v169
	v_add_co_u32 v88, s1, s2, v88
	v_add_co_ci_u32_e64 v89, s1, s3, v89, s1
	v_sub_nc_u16 v178, v164, v90
	v_lshlrev_b16 v90, 4, v178
	v_and_b32_e32 v90, 0xffff, v90
	v_add_co_u32 v90, s1, s2, v90
	v_add_co_ci_u32_e64 v91, null, s3, 0, s1
	s_waitcnt vmcnt(1) lgkmcnt(11)
	v_mul_f32_e32 v104, v101, v97
	v_fma_f32 v113, v100, v96, -v104
	s_clause 0x1
	global_load_dwordx4 v[104:107], v[88:89], off offset:1120
	global_load_dwordx4 v[88:91], v[90:91], off offset:1120
	v_mul_f32_e32 v100, v100, v97
	v_fmac_f32_e32 v100, v101, v96
	s_waitcnt vmcnt(1)
	v_mul_f32_e32 v101, v103, v105
	s_waitcnt lgkmcnt(10)
	v_mul_f32_e32 v182, v86, v107
	v_mul_f32_e32 v180, v102, v105
	v_fma_f32 v179, v102, v104, -v101
	v_mul_f32_e32 v101, v85, v99
	v_fmac_f32_e32 v182, v87, v106
	v_lshrrev_b16 v102, 1, v110
	v_fmac_f32_e32 v180, v103, v104
	v_lshrrev_b16 v103, 1, v111
	v_fma_f32 v101, v84, v98, -v101
	v_mul_f32_e32 v84, v84, v99
	v_mul_u32_u24_sdwa v102, v102, v112 dst_sel:DWORD dst_unused:UNUSED_PAD src0_sel:WORD_0 src1_sel:DWORD
	v_mul_u32_u24_sdwa v103, v103, v112 dst_sel:DWORD dst_unused:UNUSED_PAD src0_sel:WORD_0 src1_sel:DWORD
	v_sub_f32_e32 v188, v113, v101
	v_fmac_f32_e32 v84, v85, v98
	v_mul_f32_e32 v85, v87, v107
	v_lshrrev_b16 v87, 1, v108
	v_sub_f32_e32 v187, v100, v84
	v_fma_f32 v181, v86, v106, -v85
	v_lshrrev_b16 v86, 1, v109
	v_mul_u32_u24_sdwa v87, v87, v112 dst_sel:DWORD dst_unused:UNUSED_PAD src0_sel:WORD_0 src1_sel:DWORD
	v_lshrrev_b16 v85, 1, v160
	v_mul_u32_u24_sdwa v86, v86, v112 dst_sel:DWORD dst_unused:UNUSED_PAD src0_sel:WORD_0 src1_sel:DWORD
	v_lshrrev_b32_e32 v184, 22, v87
	v_add_f32_e32 v87, v100, v84
	v_mul_u32_u24_sdwa v85, v85, v112 dst_sel:DWORD dst_unused:UNUSED_PAD src0_sel:WORD_0 src1_sel:DWORD
	v_lshrrev_b32_e32 v86, 22, v86
	v_mul_lo_u16 v86, 0x96, v86
	v_sub_nc_u16 v183, v109, v86
	v_mul_lo_u16 v86, 0x96, v184
	v_sub_nc_u16 v185, v108, v86
	v_lshrrev_b32_e32 v86, 22, v102
	v_mul_lo_u16 v86, 0x96, v86
	v_sub_nc_u16 v186, v110, v86
	v_lshrrev_b32_e32 v86, 22, v103
	v_mul_lo_u16 v86, 0x96, v86
	v_sub_nc_u16 v103, v111, v86
	s_waitcnt lgkmcnt(0)
	v_add_f32_e32 v86, v149, v100
	v_fma_f32 v149, -0.5, v87, v149
	buffer_store_dword v103, off, s[16:19], 0 offset:244 ; 4-byte Folded Spill
	v_add_f32_e32 v173, v86, v84
	v_add_f32_e32 v84, v148, v113
	v_fmamk_f32 v177, v188, 0xbf5db3d7, v149
	v_fmac_f32_e32 v149, 0x3f5db3d7, v188
	v_add_f32_e32 v172, v84, v101
	v_add_f32_e32 v84, v113, v101
	v_fma_f32 v148, -0.5, v84, v148
	v_lshrrev_b32_e32 v84, 22, v85
	v_lshlrev_b16 v85, 4, v183
	v_fmamk_f32 v176, v187, 0x3f5db3d7, v148
	v_mul_lo_u16 v84, 0x96, v84
	v_and_b32_e32 v86, 0xffff, v85
	v_lshlrev_b16 v85, 4, v185
	v_fmac_f32_e32 v148, 0xbf5db3d7, v187
	v_sub_nc_u16 v189, v160, v84
	v_and_b32_e32 v100, 0xffff, v85
	v_lshlrev_b16 v85, 4, v186
	v_lshlrev_b16 v84, 4, v189
	v_and_b32_e32 v102, 0xffff, v85
	v_lshlrev_b16 v85, 4, v103
	v_and_b32_e32 v84, 0xffff, v84
	v_and_b32_e32 v108, 0xffff, v85
	v_add_co_u32 v84, s1, s2, v84
	v_add_co_ci_u32_e64 v85, null, s3, 0, s1
	v_add_co_u32 v86, s1, s2, v86
	v_add_co_ci_u32_e64 v87, null, s3, 0, s1
	;; [unrolled: 2-line block ×5, first 2 shown]
	s_clause 0x4
	global_load_dwordx4 v[116:119], v[84:85], off offset:1120
	global_load_dwordx4 v[112:115], v[86:87], off offset:1120
	;; [unrolled: 1-line block ×5, first 2 shown]
	s_waitcnt vmcnt(0)
	s_waitcnt_vscnt null, 0x0
	s_barrier
	buffer_gl0_inv
	ds_write2_b64 v236, v[172:173], v[176:177] offset1:150
	v_mul_f32_e32 v172, v157, v93
	v_mul_f32_e32 v173, v152, v95
	v_cmp_lt_u16_e64 s1, 59, v237
	ds_write_b64 v236, v[148:149] offset:2400
	v_add_f32_e32 v148, v151, v180
	v_fma_f32 v172, v156, v92, -v172
	v_mul_f32_e32 v156, v156, v93
	v_fmac_f32_e32 v173, v153, v94
	v_add_f32_e32 v149, v148, v182
	v_add_f32_e32 v148, v150, v179
	v_fmac_f32_e32 v156, v157, v92
	v_mul_f32_e32 v157, v159, v89
	v_add_f32_e32 v148, v148, v181
	v_fma_f32 v157, v158, v88, -v157
	v_mul_f32_e32 v158, v158, v89
	v_fmac_f32_e32 v158, v159, v88
	v_mul_f32_e32 v159, v153, v95
	v_add_f32_e32 v153, v179, v181
	v_fma_f32 v159, v152, v94, -v159
	v_mul_f32_e32 v152, v155, v91
	v_fma_f32 v150, -0.5, v153, v150
	v_fma_f32 v175, v154, v90, -v152
	v_cndmask_b32_e64 v152, 0, 0x1c2, s1
	v_mul_f32_e32 v154, v154, v91
	v_add_lshl_u32 v174, v168, v152, 3
	v_add_f32_e32 v152, v180, v182
	v_fmac_f32_e32 v154, v155, v90
	v_sub_f32_e32 v155, v180, v182
	v_sub_f32_e32 v168, v179, v181
	buffer_store_dword v174, off, s[16:19], 0 offset:248 ; 4-byte Folded Spill
	v_fmac_f32_e32 v151, -0.5, v152
	v_fmamk_f32 v152, v155, 0x3f5db3d7, v150
	v_fmac_f32_e32 v150, 0xbf5db3d7, v155
	v_fmamk_f32 v153, v168, 0xbf5db3d7, v151
	v_fmac_f32_e32 v151, 0x3f5db3d7, v168
	ds_write2_b64 v174, v[148:149], v[152:153] offset1:150
	ds_write_b64 v174, v[150:151] offset:2400
	v_add_f32_e32 v148, v145, v156
	v_add_f32_e32 v150, v156, v173
	;; [unrolled: 1-line block ×3, first 2 shown]
	v_sub_f32_e32 v152, v156, v173
	v_sub_f32_e32 v153, v172, v159
	v_add_f32_e32 v149, v148, v173
	v_add_f32_e32 v148, v144, v172
	v_fma_f32 v144, -0.5, v151, v144
	v_fma_f32 v145, -0.5, v150, v145
	v_add_nc_u32_e32 v174, 0xc00, v236
	v_add_f32_e32 v148, v148, v159
	v_fmamk_f32 v150, v152, 0x3f5db3d7, v144
	v_fmamk_f32 v151, v153, 0xbf5db3d7, v145
	v_fmac_f32_e32 v144, 0xbf5db3d7, v152
	v_fmac_f32_e32 v145, 0x3f5db3d7, v153
	v_sub_f32_e32 v152, v158, v154
	v_sub_f32_e32 v153, v157, v175
	ds_write2_b64 v174, v[148:149], v[150:151] offset0:96 offset1:246
	v_add_f32_e32 v150, v158, v154
	ds_write_b64 v236, v[144:145] offset:6240
	v_add_f32_e32 v144, v147, v158
	v_mad_u16 v145, 0x1c2, v169, v178
	v_fmac_f32_e32 v147, -0.5, v150
	v_add_f32_e32 v149, v144, v154
	v_add_f32_e32 v144, v146, v157
	v_fmamk_f32 v151, v153, 0xbf5db3d7, v147
	v_fmac_f32_e32 v147, 0x3f5db3d7, v153
	v_add_f32_e32 v148, v144, v175
	v_add_f32_e32 v144, v157, v175
	v_fma_f32 v146, -0.5, v144, v146
	v_mov_b32_e32 v144, 3
	v_fmamk_f32 v150, v152, 0x3f5db3d7, v146
	v_lshlrev_b32_sdwa v145, v144, v145 dst_sel:DWORD dst_unused:UNUSED_PAD src0_sel:DWORD src1_sel:WORD_0
	v_fmac_f32_e32 v146, 0xbf5db3d7, v152
	ds_write2_b64 v145, v[148:149], v[150:151] offset1:150
	buffer_store_dword v145, off, s[16:19], 0 offset:252 ; 4-byte Folded Spill
	ds_write_b64 v145, v[146:147] offset:2400
	v_lshlrev_b32_sdwa v148, v144, v189 dst_sel:DWORD dst_unused:UNUSED_PAD src0_sel:DWORD src1_sel:WORD_0
	buffer_store_dword v148, off, s[16:19], 0 offset:256 ; 4-byte Folded Spill
	v_mul_f32_e32 v145, v141, v117
	v_fma_f32 v145, v140, v116, -v145
	v_mul_f32_e32 v140, v140, v117
	v_fmac_f32_e32 v140, v141, v116
	v_mul_f32_e32 v141, v136, v119
	v_fmac_f32_e32 v141, v137, v118
	v_mul_f32_e32 v137, v137, v119
	v_sub_f32_e32 v147, v140, v141
	v_fma_f32 v146, v136, v118, -v137
	v_add_f32_e32 v136, v125, v140
	v_add_f32_e32 v140, v140, v141
	;; [unrolled: 1-line block ×5, first 2 shown]
	v_sub_f32_e32 v145, v145, v146
	v_fma_f32 v125, -0.5, v140, v125
	v_fma_f32 v124, -0.5, v141, v124
	v_add_f32_e32 v136, v136, v146
	v_add_nc_u32_e32 v146, 0x1c00, v148
	v_fmamk_f32 v141, v145, 0xbf5db3d7, v125
	v_fmac_f32_e32 v125, 0x3f5db3d7, v145
	v_fmamk_f32 v140, v147, 0x3f5db3d7, v124
	v_fmac_f32_e32 v124, 0xbf5db3d7, v147
	ds_write2_b64 v146, v[136:137], v[140:141] offset0:4 offset1:154
	v_mul_f32_e32 v136, v143, v113
	v_mul_f32_e32 v137, v138, v115
	ds_write_b64 v148, v[124:125] offset:9600
	v_fma_f32 v140, v142, v112, -v136
	v_mul_f32_e32 v136, v142, v113
	v_fmac_f32_e32 v137, v139, v114
	v_mul_f32_e32 v139, v139, v115
	v_fmac_f32_e32 v136, v143, v112
	v_lshlrev_b32_sdwa v143, v144, v183 dst_sel:DWORD dst_unused:UNUSED_PAD src0_sel:DWORD src1_sel:WORD_0
	v_fma_f32 v138, v138, v114, -v139
	v_add_f32_e32 v139, v127, v136
	v_sub_f32_e32 v141, v136, v137
	v_add_f32_e32 v142, v136, v137
	v_add_f32_e32 v136, v126, v140
	buffer_store_dword v143, off, s[16:19], 0 offset:260 ; 4-byte Folded Spill
	v_add_f32_e32 v137, v139, v137
	v_add_f32_e32 v139, v140, v138
	v_sub_f32_e32 v140, v140, v138
	v_fmac_f32_e32 v127, -0.5, v142
	v_add_f32_e32 v136, v136, v138
	v_add_nc_u32_e32 v142, 0x2800, v143
	v_fma_f32 v126, -0.5, v139, v126
	v_fmamk_f32 v139, v140, 0xbf5db3d7, v127
	v_fmac_f32_e32 v127, 0x3f5db3d7, v140
	v_fmamk_f32 v138, v141, 0x3f5db3d7, v126
	v_fmac_f32_e32 v126, 0xbf5db3d7, v141
	ds_write2_b64 v142, v[136:137], v[138:139] offset0:70 offset1:220
	v_mul_f32_e32 v136, v133, v109
	ds_write_b64 v143, v[126:127] offset:13200
	v_fma_f32 v136, v132, v108, -v136
	v_mul_f32_e32 v132, v132, v109
	v_fmac_f32_e32 v132, v133, v108
	v_mul_f32_e32 v133, v135, v101
	v_add_f32_e32 v124, v121, v132
	v_fma_f32 v133, v134, v100, -v133
	v_mul_f32_e32 v134, v134, v101
	v_fmac_f32_e32 v134, v135, v100
	v_mul_f32_e32 v135, v129, v111
	v_fma_f32 v135, v128, v110, -v135
	v_mul_f32_e32 v128, v128, v111
	v_add_f32_e32 v126, v136, v135
	v_fmac_f32_e32 v128, v129, v110
	v_mul_f32_e32 v129, v131, v103
	v_fma_f32 v126, -0.5, v126, v120
	v_add_f32_e32 v127, v132, v128
	v_fma_f32 v137, v130, v102, -v129
	v_mul_f32_e32 v129, v130, v103
	v_mad_u16 v130, 0x1c2, v184, v185
	v_add_f32_e32 v125, v124, v128
	v_add_f32_e32 v124, v120, v136
	v_fma_f32 v127, -0.5, v127, v121
	v_fmac_f32_e32 v129, v131, v102
	v_sub_f32_e32 v131, v132, v128
	v_sub_f32_e32 v132, v136, v135
	v_add_f32_e32 v124, v124, v135
	v_lshlrev_b32_sdwa v138, v144, v130 dst_sel:DWORD dst_unused:UNUSED_PAD src0_sel:DWORD src1_sel:WORD_0
	v_sub_f32_e32 v135, v134, v129
	v_fmamk_f32 v120, v131, 0x3f5db3d7, v126
	v_fmamk_f32 v121, v132, 0xbf5db3d7, v127
	v_fmac_f32_e32 v126, 0xbf5db3d7, v131
	v_fmac_f32_e32 v127, 0x3f5db3d7, v132
	buffer_store_dword v138, off, s[16:19], 0 offset:264 ; 4-byte Folded Spill
	ds_write2_b64 v138, v[124:125], v[120:121] offset1:150
	v_mul_f32_e32 v124, v1, v87
	v_mul_f32_e32 v125, v0, v87
	;; [unrolled: 1-line block ×4, first 2 shown]
	ds_write_b64 v138, v[126:127] offset:2400
	v_fma_f32 v124, v0, v86, -v124
	v_add_f32_e32 v0, v123, v134
	v_fmac_f32_e32 v125, v1, v86
	v_add_f32_e32 v1, v134, v129
	v_fma_f32 v120, v162, v84, -v120
	v_fmac_f32_e32 v121, v163, v84
	v_add_f32_e32 v129, v0, v129
	v_add_f32_e32 v0, v122, v133
	v_fmac_f32_e32 v123, -0.5, v1
	v_sub_f32_e32 v136, v120, v124
	v_add_f32_e32 v1, v121, v125
	v_sub_f32_e32 v134, v121, v125
	v_add_f32_e32 v128, v0, v137
	v_add_f32_e32 v0, v133, v137
	v_sub_f32_e32 v133, v133, v137
	v_lshlrev_b32_sdwa v137, v144, v186 dst_sel:DWORD dst_unused:UNUSED_PAD src0_sel:DWORD src1_sel:WORD_0
	v_fma_f32 v1, -0.5, v1, v167
	v_fma_f32 v122, -0.5, v0, v122
	v_add_f32_e32 v0, v120, v124
	v_fmamk_f32 v131, v133, 0xbf5db3d7, v123
	v_fmac_f32_e32 v123, 0x3f5db3d7, v133
	v_add_nc_u32_e32 v126, 0x3800, v137
	v_fmamk_f32 v130, v135, 0x3f5db3d7, v122
	v_fma_f32 v0, -0.5, v0, v166
	v_fmac_f32_e32 v122, 0xbf5db3d7, v135
	v_fmamk_f32 v163, v136, 0xbf5db3d7, v1
	v_fmac_f32_e32 v1, 0x3f5db3d7, v136
	ds_write2_b64 v126, v[128:129], v[130:131] offset0:8 offset1:158
	v_fmamk_f32 v162, v134, 0x3f5db3d7, v0
	v_fmac_f32_e32 v0, 0xbf5db3d7, v134
	buffer_store_dword v137, off, s[16:19], 0 offset:268 ; 4-byte Folded Spill
	ds_write_b64 v137, v[122:123] offset:16800
	s_and_saveexec_b32 s1, s0
	s_cbranch_execz .LBB0_15
; %bb.14:
	buffer_load_dword v122, off, s[16:19], 0 offset:244 ; 4-byte Folded Reload
	v_add_f32_e32 v121, v167, v121
	v_add_f32_e32 v120, v166, v120
	;; [unrolled: 1-line block ×4, first 2 shown]
	s_waitcnt vmcnt(0)
	v_lshlrev_b32_sdwa v122, v144, v122 dst_sel:DWORD dst_unused:UNUSED_PAD src0_sel:DWORD src1_sel:WORD_0
	v_add_nc_u32_e32 v123, 0x3800, v122
	ds_write2_b64 v123, v[120:121], v[162:163] offset0:8 offset1:158
	ds_write_b64 v122, v[0:1] offset:16800
.LBB0_15:
	s_or_b32 exec_lo, exec_lo, s1
	v_lshlrev_b32_e32 v120, 5, v237
	v_lshlrev_b32_e32 v124, 5, v171
	;; [unrolled: 1-line block ×3, first 2 shown]
	s_waitcnt lgkmcnt(0)
	s_waitcnt_vscnt null, 0x0
	s_barrier
	v_add_co_u32 v122, s1, s2, v120
	v_add_co_ci_u32_e64 v123, null, s3, 0, s1
	buffer_gl0_inv
	v_add_co_u32 v120, s1, 0xdc0, v122
	v_add_co_ci_u32_e64 v121, s1, 0, v123, s1
	v_add_co_u32 v130, s1, s2, v124
	v_add_co_ci_u32_e64 v131, null, s3, 0, s1
	v_add_co_u32 v122, s1, 0x800, v122
	v_add_co_ci_u32_e64 v123, s1, 0, v123, s1
	v_add_co_u32 v128, s1, 0x800, v130
	v_add_co_ci_u32_e64 v129, s1, 0, v131, s1
	s_clause 0x1
	global_load_dwordx4 v[124:127], v[122:123], off offset:1472
	global_load_dwordx4 v[120:123], v[120:121], off offset:16
	v_lshlrev_b64 v[140:141], 5, v[164:165]
	v_add_nc_u32_e32 v176, 0x1800, v236
	global_load_dwordx4 v[132:135], v[128:129], off offset:1472
	v_add_co_u32 v128, s1, 0xdc0, v130
	v_add_co_ci_u32_e64 v129, s1, 0, v131, s1
	v_add_co_u32 v142, s1, s2, v136
	v_add_co_ci_u32_e64 v143, null, s3, 0, s1
	global_load_dwordx4 v[136:139], v[128:129], off offset:16
	v_add_co_u32 v128, s1, 0x800, v142
	v_add_co_ci_u32_e64 v129, s1, 0, v143, s1
	v_add_co_u32 v142, s1, 0xdc0, v142
	v_add_co_ci_u32_e64 v143, s1, 0, v143, s1
	v_add_co_u32 v148, s1, s2, v140
	global_load_dwordx4 v[128:131], v[128:129], off offset:1472
	v_add_co_ci_u32_e64 v149, s1, s3, v141, s1
	global_load_dwordx4 v[140:143], v[142:143], off offset:16
	v_add_co_u32 v144, s1, 0x800, v148
	v_add_co_ci_u32_e64 v145, s1, 0, v149, s1
	v_add_co_u32 v148, s1, 0xdc0, v148
	v_add_co_ci_u32_e64 v149, s1, 0, v149, s1
	global_load_dwordx4 v[144:147], v[144:145], off offset:1472
	v_add_nc_u32_e32 v175, 0x3800, v236
	v_add_nc_u32_e32 v179, 0x1000, v236
	global_load_dwordx4 v[148:151], v[148:149], off offset:16
	ds_read2_b64 v[152:155], v176 offset0:132 offset1:222
	ds_read2_b64 v[156:159], v175 offset0:8 offset1:98
	v_add_nc_u32_e32 v177, 0x2800, v236
	ds_read2_b64 v[164:167], v179 offset0:28 offset1:118
	v_add_nc_u32_e32 v178, 0x2000, v236
	ds_read2_b64 v[168:171], v177 offset0:160 offset1:250
	ds_read2_b64 v[199:202], v178 offset0:56 offset1:146
	v_add_nc_u32_e32 v214, 0x1400, v236
	s_waitcnt vmcnt(7) lgkmcnt(4)
	v_mul_f32_e32 v172, v153, v127
	v_mul_f32_e32 v195, v152, v127
	s_waitcnt vmcnt(6) lgkmcnt(3)
	v_mul_f32_e32 v180, v157, v123
	v_mul_f32_e32 v196, v156, v123
	s_waitcnt vmcnt(5)
	v_mul_f32_e32 v173, v155, v135
	v_fma_f32 v197, v152, v126, -v172
	v_fmac_f32_e32 v195, v153, v126
	s_waitcnt lgkmcnt(2)
	v_mul_f32_e32 v153, v165, v133
	v_mul_f32_e32 v187, v154, v135
	v_fma_f32 v188, v154, v134, -v173
	v_fma_f32 v198, v156, v122, -v180
	v_add_nc_u32_e32 v180, 0x3c00, v236
	v_fma_f32 v193, v164, v132, -v153
	s_waitcnt vmcnt(4)
	v_mul_f32_e32 v152, v159, v139
	s_waitcnt lgkmcnt(1)
	v_mul_f32_e32 v154, v169, v137
	v_mul_f32_e32 v192, v168, v137
	v_fmac_f32_e32 v187, v155, v134
	v_mul_f32_e32 v189, v158, v139
	v_fma_f32 v191, v158, v138, -v152
	v_fma_f32 v194, v168, v136, -v154
	v_fmac_f32_e32 v192, v169, v136
	v_fmac_f32_e32 v196, v157, v122
	v_fmac_f32_e32 v189, v159, v138
	v_mul_f32_e32 v190, v164, v133
	s_waitcnt vmcnt(3)
	v_mul_f32_e32 v152, v167, v129
	s_waitcnt lgkmcnt(0)
	v_mul_f32_e32 v153, v200, v131
	v_mul_f32_e32 v181, v199, v131
	s_waitcnt vmcnt(2)
	v_mul_f32_e32 v173, v170, v141
	v_mul_f32_e32 v172, v166, v129
	v_fma_f32 v182, v166, v128, -v152
	v_mul_f32_e32 v152, v171, v141
	v_fma_f32 v184, v199, v130, -v153
	v_fmac_f32_e32 v173, v171, v140
	v_fmac_f32_e32 v181, v200, v130
	v_add_nc_u32_e32 v200, 0x2400, v236
	v_fma_f32 v183, v170, v140, -v152
	s_waitcnt vmcnt(1)
	v_mul_f32_e32 v152, v202, v147
	v_fmac_f32_e32 v190, v165, v132
	v_fmac_f32_e32 v172, v167, v128
	v_mul_f32_e32 v168, v201, v147
	v_add_nc_u32_e32 v199, 0x400, v236
	v_fma_f32 v169, v201, v146, -v152
	ds_read2_b64 v[152:155], v180 offset0:60 offset1:150
	v_add_nc_u32_e32 v201, 0x800, v236
	v_fmac_f32_e32 v168, v202, v146
	s_waitcnt lgkmcnt(0)
	v_mul_f32_e32 v156, v153, v143
	v_mul_f32_e32 v186, v152, v143
	s_waitcnt vmcnt(0)
	v_mul_f32_e32 v170, v154, v151
	v_fma_f32 v185, v152, v142, -v156
	v_mul_f32_e32 v152, v155, v151
	v_fmac_f32_e32 v186, v153, v142
	v_fmac_f32_e32 v170, v155, v150
	v_fma_f32 v171, v154, v150, -v152
	v_lshlrev_b64 v[152:153], 5, v[160:161]
	ds_read2_b64 v[158:161], v214 offset0:80 offset1:170
	v_add_co_u32 v154, s1, s2, v152
	v_add_co_ci_u32_e64 v155, s1, s3, v153, s1
	v_add_co_u32 v152, s1, 0x800, v154
	v_add_co_ci_u32_e64 v153, s1, 0, v155, s1
	;; [unrolled: 2-line block ×3, first 2 shown]
	s_waitcnt lgkmcnt(0)
	v_mul_f32_e32 v156, v159, v145
	v_mul_f32_e32 v216, v158, v145
	v_fma_f32 v215, v158, v144, -v156
	v_fmac_f32_e32 v216, v159, v144
	s_clause 0x1
	global_load_dwordx4 v[156:159], v[152:153], off offset:1472
	global_load_dwordx4 v[152:155], v[154:155], off offset:16
	ds_read2_b64 v[202:205], v236 offset1:90
	ds_read2_b64 v[206:209], v199 offset0:52 offset1:142
	v_sub_f32_e32 v232, v215, v171
	v_sub_f32_e32 v229, v216, v170
	s_waitcnt vmcnt(1)
	v_mul_f32_e32 v164, v161, v157
	v_mul_f32_e32 v218, v160, v157
	v_fma_f32 v217, v160, v156, -v164
	ds_read2_b64 v[164:167], v200 offset0:108 offset1:198
	v_fmac_f32_e32 v218, v161, v156
	s_waitcnt lgkmcnt(0)
	v_mul_f32_e32 v160, v167, v121
	v_mul_f32_e32 v211, v166, v121
	;; [unrolled: 1-line block ×3, first 2 shown]
	v_fma_f32 v210, v166, v120, -v160
	v_mul_f32_e32 v160, v165, v159
	v_fmac_f32_e32 v211, v167, v120
	v_fmac_f32_e32 v220, v165, v158
	v_sub_f32_e32 v161, v198, v210
	v_fma_f32 v219, v164, v158, -v160
	ds_read2_b64 v[164:167], v201 offset0:104 offset1:194
	v_sub_f32_e32 v225, v195, v211
	v_sub_f32_e32 v226, v197, v210
	s_waitcnt lgkmcnt(0)
	v_mul_f32_e32 v160, v167, v125
	v_mul_f32_e32 v221, v166, v125
	v_fma_f32 v212, v166, v124, -v160
	v_fmac_f32_e32 v221, v167, v124
	v_sub_f32_e32 v167, v196, v211
	v_sub_f32_e32 v160, v212, v197
	;; [unrolled: 1-line block ×5, first 2 shown]
	v_add_f32_e32 v213, v160, v161
	v_add_f32_e32 v160, v197, v210
	;; [unrolled: 1-line block ×4, first 2 shown]
	v_fma_f32 v160, -0.5, v160, v202
	v_fma_f32 v161, -0.5, v161, v203
	v_fmamk_f32 v166, v223, 0x3f737871, v160
	v_fmamk_f32 v167, v224, 0xbf737871, v161
	v_fmac_f32_e32 v160, 0xbf737871, v223
	v_fmac_f32_e32 v161, 0x3f737871, v224
	;; [unrolled: 1-line block ×10, first 2 shown]
	v_sub_f32_e32 v222, v190, v189
	ds_write_b64 v236, v[166:167] offset:3600
	v_add_f32_e32 v166, v202, v212
	v_add_f32_e32 v167, v203, v221
	ds_write_b64 v236, v[160:161] offset:14400
	v_add_f32_e32 v160, v204, v193
	v_add_f32_e32 v161, v205, v190
	;; [unrolled: 1-line block ×4, first 2 shown]
	v_sub_f32_e32 v197, v197, v212
	v_add_f32_e32 v212, v212, v198
	v_add_f32_e32 v160, v160, v188
	;; [unrolled: 1-line block ×4, first 2 shown]
	v_sub_f32_e32 v210, v210, v198
	v_sub_f32_e32 v211, v211, v196
	v_add_f32_e32 v161, v161, v187
	v_add_f32_e32 v166, v166, v198
	v_sub_f32_e32 v198, v195, v221
	v_add_f32_e32 v221, v221, v196
	v_add_f32_e32 v167, v167, v196
	v_fma_f32 v195, -0.5, v212, v202
	v_add_f32_e32 v202, v197, v210
	v_add_f32_e32 v160, v160, v194
	v_fma_f32 v196, -0.5, v221, v203
	v_add_f32_e32 v203, v198, v211
	v_fmamk_f32 v197, v225, 0xbf737871, v195
	v_fmac_f32_e32 v195, 0x3f737871, v225
	v_add_f32_e32 v161, v161, v192
	v_fmamk_f32 v198, v226, 0x3f737871, v196
	v_fmac_f32_e32 v196, 0xbf737871, v226
	v_fmac_f32_e32 v197, 0x3f167918, v223
	;; [unrolled: 1-line block ×3, first 2 shown]
	v_add_f32_e32 v160, v160, v191
	v_fmac_f32_e32 v198, 0xbf167918, v224
	v_fmac_f32_e32 v196, 0x3f167918, v224
	;; [unrolled: 1-line block ×4, first 2 shown]
	v_add_f32_e32 v161, v161, v189
	v_fmac_f32_e32 v198, 0x3e9e377a, v203
	v_fmac_f32_e32 v196, 0x3e9e377a, v203
	v_sub_f32_e32 v203, v187, v192
	v_sub_f32_e32 v221, v188, v194
	;; [unrolled: 1-line block ×3, first 2 shown]
	ds_write_b64 v236, v[197:198] offset:7200
	ds_write_b64 v236, v[195:196] offset:10800
	v_add_nc_u32_e32 v196, 0x3000, v236
	ds_read_b64 v[197:198], v236 offset:17280
	ds_read2_b64 v[210:213], v196 offset0:84 offset1:174
	ds_write2_b64 v236, v[166:167], v[160:161] offset1:90
	v_add_f32_e32 v160, v188, v194
	v_add_f32_e32 v161, v193, v191
	v_sub_f32_e32 v166, v194, v191
	v_sub_f32_e32 v167, v192, v189
	;; [unrolled: 1-line block ×3, first 2 shown]
	v_fma_f32 v160, -0.5, v160, v204
	v_fma_f32 v204, -0.5, v161, v204
	v_sub_f32_e32 v161, v188, v193
	v_sub_f32_e32 v188, v193, v188
	v_add_f32_e32 v224, v208, v215
	v_add_f32_e32 v195, v161, v166
	;; [unrolled: 1-line block ×4, first 2 shown]
	v_sub_f32_e32 v189, v189, v192
	v_add_f32_e32 v188, v188, v191
	v_fma_f32 v161, -0.5, v161, v205
	v_fmac_f32_e32 v205, -0.5, v166
	v_sub_f32_e32 v166, v187, v190
	v_sub_f32_e32 v187, v190, v187
	;; [unrolled: 1-line block ×3, first 2 shown]
	v_add_f32_e32 v202, v166, v167
	v_fmamk_f32 v166, v203, 0xbf737871, v204
	v_fmamk_f32 v167, v221, 0x3f737871, v205
	v_add_f32_e32 v187, v187, v189
	v_fmac_f32_e32 v204, 0x3f737871, v203
	v_fmac_f32_e32 v205, 0xbf737871, v221
	;; [unrolled: 1-line block ×4, first 2 shown]
	v_sub_f32_e32 v189, v172, v181
	v_fmac_f32_e32 v204, 0xbf167918, v222
	v_fmac_f32_e32 v205, 0x3f167918, v223
	;; [unrolled: 1-line block ×6, first 2 shown]
	v_sub_f32_e32 v202, v172, v186
	ds_write_b64 v236, v[166:167] offset:7920
	v_fmamk_f32 v166, v222, 0x3f737871, v160
	v_fmac_f32_e32 v160, 0xbf737871, v222
	v_fmamk_f32 v167, v223, 0xbf737871, v161
	v_fmac_f32_e32 v161, 0x3f737871, v223
	ds_write_b64 v236, v[204:205] offset:11520
	v_fmac_f32_e32 v166, 0x3f167918, v203
	v_fmac_f32_e32 v160, 0xbf167918, v203
	;; [unrolled: 1-line block ×4, first 2 shown]
	v_sub_f32_e32 v203, v182, v185
	v_fmac_f32_e32 v166, 0x3e9e377a, v188
	v_fmac_f32_e32 v160, 0x3e9e377a, v188
	;; [unrolled: 1-line block ×4, first 2 shown]
	v_sub_f32_e32 v204, v181, v173
	v_sub_f32_e32 v205, v184, v183
	v_add_f32_e32 v195, v189, v190
	v_add_f32_e32 v189, v215, v171
	ds_write_b64 v236, v[160:161] offset:15120
	v_sub_f32_e32 v160, v182, v184
	v_sub_f32_e32 v161, v185, v183
	v_add_f32_e32 v194, v160, v161
	v_add_f32_e32 v160, v184, v183
	v_add_f32_e32 v161, v181, v173
	v_fma_f32 v160, -0.5, v160, v206
	v_fma_f32 v161, -0.5, v161, v207
	v_fmamk_f32 v187, v202, 0x3f737871, v160
	v_fmamk_f32 v188, v203, 0xbf737871, v161
	v_fmac_f32_e32 v160, 0xbf737871, v202
	v_fmac_f32_e32 v161, 0x3f737871, v203
	;; [unrolled: 1-line block ×10, first 2 shown]
	ds_write2_b64 v179, v[166:167], v[187:188] offset0:28 offset1:118
	v_sub_f32_e32 v187, v181, v172
	v_sub_f32_e32 v188, v173, v186
	;; [unrolled: 1-line block ×4, first 2 shown]
	v_add_f32_e32 v222, v187, v188
	s_waitcnt lgkmcnt(5)
	v_mul_f32_e32 v187, v211, v149
	v_add_f32_e32 v221, v166, v167
	v_add_f32_e32 v166, v182, v185
	;; [unrolled: 1-line block ×3, first 2 shown]
	v_fma_f32 v223, v210, v148, -v187
	v_mul_f32_e32 v210, v210, v149
	v_fma_f32 v166, -0.5, v166, v206
	v_fma_f32 v167, -0.5, v167, v207
	v_add_f32_e32 v187, v169, v223
	v_fmac_f32_e32 v210, v211, v148
	v_add_f32_e32 v211, v209, v216
	v_sub_f32_e32 v228, v169, v223
	v_fmamk_f32 v191, v205, 0x3f737871, v167
	v_fma_f32 v188, -0.5, v187, v208
	v_fma_f32 v208, -0.5, v189, v208
	v_sub_f32_e32 v187, v169, v215
	v_sub_f32_e32 v189, v223, v171
	;; [unrolled: 1-line block ×4, first 2 shown]
	v_fmac_f32_e32 v167, 0xbf737871, v205
	v_fmac_f32_e32 v191, 0xbf167918, v203
	v_add_f32_e32 v225, v187, v189
	v_add_f32_e32 v187, v168, v210
	v_fmamk_f32 v192, v227, 0xbf737871, v208
	v_fmac_f32_e32 v208, 0x3f737871, v227
	v_fmac_f32_e32 v167, 0x3f167918, v203
	v_fmac_f32_e32 v191, 0x3e9e377a, v222
	v_fma_f32 v189, -0.5, v187, v209
	v_add_f32_e32 v187, v216, v170
	v_fmac_f32_e32 v208, 0xbf167918, v229
	v_fmac_f32_e32 v167, 0x3e9e377a, v222
	v_fmac_f32_e32 v192, 0x3f167918, v229
	v_fmac_f32_e32 v209, -0.5, v187
	v_sub_f32_e32 v187, v168, v216
	v_fmac_f32_e32 v208, 0x3e9e377a, v225
	v_fmac_f32_e32 v192, 0x3e9e377a, v225
	v_fmamk_f32 v193, v228, 0x3f737871, v209
	v_add_f32_e32 v226, v187, v190
	v_fmamk_f32 v190, v204, 0xbf737871, v166
	v_fmac_f32_e32 v166, 0x3f737871, v204
	v_fmac_f32_e32 v209, 0xbf737871, v228
	v_add_nc_u32_e32 v187, 0x2c00, v236
	v_fmac_f32_e32 v193, 0xbf167918, v232
	v_fmac_f32_e32 v190, 0x3f167918, v202
	;; [unrolled: 1-line block ×8, first 2 shown]
	ds_write2_b64 v178, v[190:191], v[192:193] offset0:56 offset1:146
	ds_write2_b64 v187, v[166:167], v[208:209] offset0:122 offset1:212
	v_add_f32_e32 v167, v207, v172
	v_add_f32_e32 v166, v206, v182
	s_waitcnt vmcnt(0)
	v_mul_f32_e32 v172, v213, v153
	v_mul_f32_e32 v206, v212, v153
	v_add_f32_e32 v167, v167, v181
	v_add_f32_e32 v166, v166, v184
	v_fma_f32 v182, v212, v152, -v172
	v_add_f32_e32 v172, v224, v169
	v_sub_f32_e32 v169, v215, v169
	v_add_f32_e32 v167, v167, v173
	v_add_f32_e32 v173, v211, v168
	;; [unrolled: 1-line block ×4, first 2 shown]
	v_sub_f32_e32 v168, v216, v168
	v_add_f32_e32 v167, v167, v186
	v_add_f32_e32 v173, v173, v210
	v_add_f32_e32 v166, v166, v185
	v_add_f32_e32 v172, v172, v171
	v_sub_f32_e32 v171, v171, v223
	v_fmac_f32_e32 v206, v213, v152
	v_add_f32_e32 v173, v173, v170
	v_sub_f32_e32 v170, v170, v210
	v_sub_f32_e32 v185, v219, v182
	v_add_f32_e32 v169, v169, v171
	v_mul_f32_e32 v171, v197, v155
	ds_write2_b64 v199, v[166:167], v[172:173] offset0:52 offset1:142
	v_fmamk_f32 v166, v229, 0x3f737871, v188
	v_fmac_f32_e32 v188, 0xbf737871, v229
	v_fmamk_f32 v167, v232, 0xbf737871, v189
	v_fmac_f32_e32 v189, 0x3f737871, v232
	v_add_f32_e32 v168, v168, v170
	v_fmac_f32_e32 v171, v198, v154
	v_fmac_f32_e32 v188, 0xbf167918, v227
	;; [unrolled: 1-line block ×5, first 2 shown]
	v_sub_f32_e32 v181, v218, v171
	v_fmac_f32_e32 v188, 0x3e9e377a, v169
	v_fmac_f32_e32 v167, 0x3e9e377a, v168
	;; [unrolled: 1-line block ×4, first 2 shown]
	v_sub_f32_e32 v169, v171, v206
	v_sub_f32_e32 v183, v220, v206
	;; [unrolled: 1-line block ×3, first 2 shown]
	ds_write2_b64 v180, v[160:161], v[188:189] offset0:60 offset1:150
	v_mul_f32_e32 v160, v198, v155
	v_sub_f32_e32 v161, v217, v219
	v_add_f32_e32 v188, v218, v171
	v_fma_f32 v170, v197, v154, -v160
	v_add_f32_e32 v160, v219, v182
	v_sub_f32_e32 v168, v170, v182
	v_fma_f32 v160, -0.5, v160, v164
	v_sub_f32_e32 v184, v217, v170
	v_add_f32_e32 v172, v161, v168
	v_add_f32_e32 v161, v220, v206
	v_sub_f32_e32 v168, v218, v220
	v_fma_f32 v161, -0.5, v161, v165
	v_add_f32_e32 v173, v168, v169
	v_fmamk_f32 v168, v181, 0x3f737871, v160
	v_fmac_f32_e32 v160, 0xbf737871, v181
	v_fmamk_f32 v169, v184, 0xbf737871, v161
	v_fmac_f32_e32 v161, 0x3f737871, v184
	v_fmac_f32_e32 v168, 0x3f167918, v183
	;; [unrolled: 1-line block ×7, first 2 shown]
	v_add_co_u32 v172, s1, 0x8800, v238
	v_fmac_f32_e32 v169, 0x3e9e377a, v173
	v_fmac_f32_e32 v161, 0x3e9e377a, v173
	v_add_co_ci_u32_e64 v173, s1, 0, v239, s1
	ds_write2_b64 v214, v[166:167], v[168:169] offset0:80 offset1:170
	v_add_f32_e32 v167, v217, v170
	v_add_f32_e32 v166, v164, v217
	v_fma_f32 v164, -0.5, v167, v164
	v_add_f32_e32 v167, v165, v218
	v_add_f32_e32 v166, v166, v219
	v_fmac_f32_e32 v165, -0.5, v188
	v_add_f32_e32 v167, v167, v220
	v_add_f32_e32 v166, v166, v182
	v_sub_f32_e32 v182, v182, v170
	v_add_f32_e32 v167, v167, v206
	v_add_f32_e32 v166, v166, v170
	v_fmamk_f32 v170, v183, 0xbf737871, v164
	v_fmac_f32_e32 v164, 0x3f737871, v183
	v_sub_f32_e32 v183, v220, v218
	v_add_f32_e32 v167, v167, v171
	v_sub_f32_e32 v171, v206, v171
	v_fmac_f32_e32 v170, 0x3f167918, v181
	v_fmac_f32_e32 v164, 0xbf167918, v181
	v_add_f32_e32 v182, v186, v182
	v_add_f32_e32 v181, v183, v171
	v_fmamk_f32 v171, v185, 0x3f737871, v165
	v_fmac_f32_e32 v165, 0xbf737871, v185
	v_fmac_f32_e32 v170, 0x3e9e377a, v182
	;; [unrolled: 1-line block ×7, first 2 shown]
	ds_write_b64 v236, v[166:167] offset:2880
	ds_write_b64 v236, v[170:171] offset:10080
	;; [unrolled: 1-line block ×4, first 2 shown]
	s_waitcnt lgkmcnt(0)
	s_barrier
	buffer_gl0_inv
	global_load_dwordx2 v[185:186], v[172:173], off offset:104
	s_clause 0x1
	buffer_load_dword v172, off, s[16:19], 0
	buffer_load_dword v173, off, s[16:19], 0 offset:4
	ds_read2_b64 v[181:184], v236 offset1:90
	s_waitcnt vmcnt(0)
	global_load_dwordx2 v[172:173], v[172:173], off offset:1616
	s_waitcnt vmcnt(0) lgkmcnt(0)
	v_mul_f32_e32 v188, v182, v173
	v_mul_f32_e32 v189, v181, v173
	v_fma_f32 v188, v181, v172, -v188
	v_fmac_f32_e32 v189, v182, v172
	v_add_co_u32 v172, s1, 0x4650, v238
	v_add_co_ci_u32_e64 v173, s1, 0, v239, s1
	v_add_co_u32 v190, s1, 0x5000, v238
	v_add_co_ci_u32_e64 v191, s1, 0, v239, s1
	s_clause 0x3
	global_load_dwordx2 v[181:182], v[172:173], off offset:720
	global_load_dwordx2 v[192:193], v[172:173], off offset:1800
	;; [unrolled: 1-line block ×4, first 2 shown]
	ds_write_b64 v236, v[188:189]
	s_waitcnt vmcnt(3)
	v_mul_f32_e32 v202, v184, v182
	v_mul_f32_e32 v203, v183, v182
	v_fma_f32 v202, v183, v181, -v202
	v_fmac_f32_e32 v203, v184, v181
	ds_read2_b64 v[181:184], v199 offset0:97 offset1:187
	s_waitcnt vmcnt(2) lgkmcnt(0)
	v_mul_f32_e32 v188, v182, v193
	v_mul_f32_e32 v189, v181, v193
	s_waitcnt vmcnt(1)
	v_mul_f32_e32 v193, v183, v195
	v_fma_f32 v188, v181, v192, -v188
	v_mul_f32_e32 v181, v184, v195
	v_fmac_f32_e32 v189, v182, v192
	v_fmac_f32_e32 v193, v184, v194
	v_fma_f32 v192, v183, v194, -v181
	ds_read2_b64 v[181:184], v174 offset0:66 offset1:156
	s_waitcnt vmcnt(0) lgkmcnt(0)
	v_mul_f32_e32 v174, v182, v198
	v_mul_f32_e32 v195, v181, v198
	v_fma_f32 v194, v181, v197, -v174
	v_fmac_f32_e32 v195, v182, v197
	global_load_dwordx2 v[181:182], v[190:191], off offset:1840
	v_add_co_u32 v190, s1, 0x5800, v238
	v_add_co_ci_u32_e64 v191, s1, 0, v239, s1
	s_clause 0x1
	global_load_dwordx2 v[197:198], v[190:191], off offset:872
	global_load_dwordx2 v[190:191], v[190:191], off offset:1592
	v_add_co_u32 v204, s1, 0x6000, v238
	v_add_co_ci_u32_e64 v205, s1, 0, v239, s1
	global_load_dwordx2 v[206:207], v[204:205], off offset:624
	s_waitcnt vmcnt(3)
	v_mul_f32_e32 v174, v184, v182
	v_mul_f32_e32 v209, v183, v182
	v_fma_f32 v208, v183, v181, -v174
	v_fmac_f32_e32 v209, v184, v181
	ds_read2_b64 v[181:184], v179 offset0:163 offset1:253
	s_waitcnt vmcnt(2) lgkmcnt(0)
	v_mul_f32_e32 v174, v182, v198
	v_mul_f32_e32 v211, v181, v198
	s_waitcnt vmcnt(1)
	v_mul_f32_e32 v198, v183, v191
	v_fma_f32 v210, v181, v197, -v174
	v_mul_f32_e32 v174, v184, v191
	v_fmac_f32_e32 v211, v182, v197
	v_fmac_f32_e32 v198, v184, v190
	v_fma_f32 v197, v183, v190, -v174
	ds_read2_b64 v[181:184], v176 offset0:132 offset1:222
	s_waitcnt vmcnt(0) lgkmcnt(0)
	v_mul_f32_e32 v174, v182, v207
	v_mul_f32_e32 v191, v181, v207
	v_fma_f32 v190, v181, v206, -v174
	v_fmac_f32_e32 v191, v182, v206
	global_load_dwordx2 v[181:182], v[204:205], off offset:1344
	v_add_co_u32 v204, s1, 0x6800, v238
	v_add_co_ci_u32_e64 v205, s1, 0, v239, s1
	s_clause 0x1
	global_load_dwordx2 v[206:207], v[204:205], off offset:376
	global_load_dwordx2 v[204:205], v[204:205], off offset:1096
	v_add_co_u32 v212, s1, 0x7000, v238
	v_add_co_ci_u32_e64 v213, s1, 0, v239, s1
	global_load_dwordx2 v[214:215], v[212:213], off offset:128
	s_waitcnt vmcnt(3)
	v_mul_f32_e32 v174, v184, v182
	v_mul_f32_e32 v217, v183, v182
	v_fma_f32 v216, v183, v181, -v174
	v_fmac_f32_e32 v217, v184, v181
	ds_read2_b64 v[181:184], v178 offset0:101 offset1:191
	s_waitcnt vmcnt(2) lgkmcnt(0)
	v_mul_f32_e32 v174, v182, v207
	v_mul_f32_e32 v219, v181, v207
	s_waitcnt vmcnt(1)
	v_mul_f32_e32 v207, v183, v205
	v_fma_f32 v218, v181, v206, -v174
	v_mul_f32_e32 v174, v184, v205
	v_fmac_f32_e32 v219, v182, v206
	v_fmac_f32_e32 v207, v184, v204
	v_fma_f32 v206, v183, v204, -v174
	ds_read2_b64 v[181:184], v177 offset0:70 offset1:160
	s_waitcnt vmcnt(0) lgkmcnt(0)
	v_mul_f32_e32 v174, v182, v215
	v_mul_f32_e32 v205, v181, v215
	v_fma_f32 v204, v181, v214, -v174
	v_fmac_f32_e32 v205, v182, v214
	s_clause 0x1
	global_load_dwordx2 v[181:182], v[212:213], off offset:848
	global_load_dwordx2 v[212:213], v[212:213], off offset:1928
	v_add_co_u32 v214, s1, 0x7800, v238
	v_add_co_ci_u32_e64 v215, s1, 0, v239, s1
	s_clause 0x1
	global_load_dwordx2 v[220:221], v[214:215], off offset:600
	global_load_dwordx2 v[214:215], v[214:215], off offset:1680
	s_waitcnt vmcnt(3)
	v_mul_f32_e32 v174, v184, v182
	v_mul_f32_e32 v223, v183, v182
	v_fma_f32 v222, v183, v181, -v174
	v_fmac_f32_e32 v223, v184, v181
	ds_read2_b64 v[181:184], v196 offset0:39 offset1:129
	s_waitcnt vmcnt(2) lgkmcnt(0)
	v_mul_f32_e32 v174, v182, v213
	v_mul_f32_e32 v225, v181, v213
	s_waitcnt vmcnt(1)
	v_mul_f32_e32 v213, v183, v221
	v_fma_f32 v224, v181, v212, -v174
	v_mul_f32_e32 v174, v184, v221
	v_fmac_f32_e32 v225, v182, v212
	v_fmac_f32_e32 v213, v184, v220
	v_fma_f32 v212, v183, v220, -v174
	ds_read2_b64 v[181:184], v175 offset0:8 offset1:98
	s_waitcnt vmcnt(0) lgkmcnt(0)
	v_mul_f32_e32 v174, v182, v215
	v_mul_f32_e32 v221, v181, v215
	v_fma_f32 v220, v181, v214, -v174
	v_add_co_u32 v181, s1, 0x8000, v238
	v_fmac_f32_e32 v221, v182, v214
	v_add_co_ci_u32_e64 v182, s1, 0, v239, s1
	s_clause 0x1
	global_load_dwordx2 v[214:215], v[181:182], off offset:352
	global_load_dwordx2 v[226:227], v[181:182], off offset:1432
	ds_write2_b64 v201, v[192:193], v[194:195] offset0:59 offset1:194
	s_waitcnt vmcnt(1)
	v_mul_f32_e32 v174, v184, v215
	v_mul_f32_e32 v229, v183, v215
	v_fma_f32 v228, v183, v214, -v174
	v_fmac_f32_e32 v229, v184, v214
	ds_read2_b64 v[181:184], v180 offset0:105 offset1:195
	s_waitcnt vmcnt(0) lgkmcnt(0)
	v_mul_f32_e32 v174, v182, v227
	v_mul_f32_e32 v215, v181, v227
	v_fma_f32 v214, v181, v226, -v174
	v_mul_f32_e32 v174, v184, v186
	v_fmac_f32_e32 v215, v182, v226
	v_mul_f32_e32 v182, v183, v186
	v_fma_f32 v181, v183, v185, -v174
	v_add_nc_u32_e32 v174, 0x1600, v236
	v_fmac_f32_e32 v182, v184, v185
	ds_write2_b64 v174, v[197:198], v[190:191] offset0:61 offset1:196
	v_add_nc_u32_e32 v174, 0x1c00, v236
	ds_write2_b64 v174, v[216:217], v[218:219] offset0:94 offset1:229
	ds_write2_b64 v200, v[206:207], v[204:205] offset0:63 offset1:198
	;; [unrolled: 1-line block ×3, first 2 shown]
	v_add_nc_u32_e32 v174, 0x3400, v236
	ds_write2_b64 v174, v[212:213], v[220:221] offset0:1 offset1:136
	ds_write2_b64 v236, v[202:203], v[188:189] offset0:90 offset1:225
	;; [unrolled: 1-line block ×4, first 2 shown]
	ds_write_b64 v236, v[181:182] offset:16920
	s_and_saveexec_b32 s2, vcc_lo
	s_cbranch_execz .LBB0_17
; %bb.16:
	v_add_co_u32 v181, s1, 0x800, v172
	v_add_co_ci_u32_e64 v182, s1, 0, v173, s1
	v_add_nc_u32_e32 v174, 0x500, v236
	s_clause 0x1
	global_load_dwordx2 v[185:186], v[172:173], off offset:1440
	global_load_dwordx2 v[187:188], v[181:182], off offset:1192
	v_add_co_u32 v181, s1, 0x1000, v172
	v_add_co_ci_u32_e64 v182, s1, 0, v173, s1
	v_add_co_u32 v183, s1, 0x1800, v172
	v_add_co_ci_u32_e64 v184, s1, 0, v173, s1
	s_clause 0x1
	global_load_dwordx2 v[189:190], v[181:182], off offset:944
	global_load_dwordx2 v[191:192], v[183:184], off offset:696
	v_add_co_u32 v181, s1, 0x2000, v172
	v_add_co_ci_u32_e64 v182, s1, 0, v173, s1
	v_add_co_u32 v183, s1, 0x2800, v172
	v_add_co_ci_u32_e64 v184, s1, 0, v173, s1
	;; [unrolled: 2-line block ×5, first 2 shown]
	s_clause 0x5
	global_load_dwordx2 v[200:201], v[181:182], off offset:448
	global_load_dwordx2 v[202:203], v[183:184], off offset:200
	;; [unrolled: 1-line block ×6, first 2 shown]
	ds_read2_b64 v[181:184], v174 offset0:20 offset1:245
	s_waitcnt vmcnt(9) lgkmcnt(0)
	v_mul_f32_e32 v195, v182, v186
	v_mul_f32_e32 v207, v181, v186
	s_waitcnt vmcnt(8)
	v_mul_f32_e32 v208, v184, v188
	v_mul_f32_e32 v186, v183, v188
	v_fma_f32 v206, v181, v185, -v195
	v_fmac_f32_e32 v207, v182, v185
	v_fma_f32 v185, v183, v187, -v208
	v_fmac_f32_e32 v186, v184, v187
	v_add_nc_u32_e32 v195, 0x1300, v236
	v_add_nc_u32_e32 v208, 0x3d00, v236
	ds_write2_b64 v174, v[206:207], v[185:186] offset0:20 offset1:245
	ds_read2_b64 v[181:184], v195 offset0:22 offset1:247
	v_add_nc_u32_e32 v206, 0x2100, v236
	v_add_nc_u32_e32 v207, 0x2f00, v236
	s_waitcnt vmcnt(7) lgkmcnt(0)
	v_mul_f32_e32 v174, v182, v190
	v_mul_f32_e32 v186, v181, v190
	s_waitcnt vmcnt(6)
	v_mul_f32_e32 v187, v184, v192
	v_mul_f32_e32 v188, v183, v192
	v_fma_f32 v185, v181, v189, -v174
	v_fmac_f32_e32 v186, v182, v189
	v_fma_f32 v187, v183, v191, -v187
	v_fmac_f32_e32 v188, v184, v191
	ds_write2_b64 v195, v[185:186], v[187:188] offset0:22 offset1:247
	ds_read2_b64 v[181:184], v206 offset0:24 offset1:249
	ds_read2_b64 v[185:188], v207 offset0:26 offset1:251
	;; [unrolled: 1-line block ×3, first 2 shown]
	s_waitcnt vmcnt(3) lgkmcnt(1)
	v_mul_f32_e32 v211, v186, v205
	v_mul_f32_e32 v209, v182, v201
	;; [unrolled: 1-line block ×6, first 2 shown]
	s_waitcnt vmcnt(2)
	v_mul_f32_e32 v212, v188, v194
	v_mul_f32_e32 v203, v187, v194
	s_waitcnt vmcnt(1) lgkmcnt(0)
	v_mul_f32_e32 v213, v190, v198
	v_mul_f32_e32 v205, v189, v198
	s_waitcnt vmcnt(0)
	v_mul_f32_e32 v214, v192, v173
	v_mul_f32_e32 v198, v191, v173
	v_fma_f32 v173, v181, v200, -v209
	v_fmac_f32_e32 v174, v182, v200
	v_fma_f32 v194, v183, v202, -v210
	v_fmac_f32_e32 v195, v184, v202
	;; [unrolled: 2-line block ×6, first 2 shown]
	ds_write2_b64 v206, v[173:174], v[194:195] offset0:24 offset1:249
	ds_write2_b64 v207, v[200:201], v[202:203] offset0:26 offset1:251
	;; [unrolled: 1-line block ×3, first 2 shown]
.LBB0_17:
	s_or_b32 exec_lo, exec_lo, s2
	v_add_nc_u32_e32 v172, 0xc00, v236
	s_waitcnt lgkmcnt(0)
	s_barrier
	buffer_gl0_inv
	ds_read2_b64 v[182:185], v236 offset1:90
	ds_read2_b64 v[192:195], v199 offset0:97 offset1:187
	ds_read2_b64 v[220:223], v172 offset0:66 offset1:156
	ds_read2_b64 v[208:211], v179 offset0:163 offset1:253
	ds_read2_b64 v[224:227], v176 offset0:132 offset1:222
	ds_read2_b64 v[204:207], v178 offset0:101 offset1:191
	ds_read2_b64 v[212:215], v177 offset0:70 offset1:160
	ds_read2_b64 v[200:203], v196 offset0:39 offset1:129
	ds_read2_b64 v[216:219], v175 offset0:8 offset1:98
	ds_read2_b64 v[196:199], v180 offset0:105 offset1:195
	s_and_saveexec_b32 s1, vcc_lo
	s_cbranch_execz .LBB0_19
; %bb.18:
	v_add_nc_u32_e32 v0, 0x1300, v236
	v_add_nc_u32_e32 v1, 0x500, v236
	;; [unrolled: 1-line block ×5, first 2 shown]
	ds_read2_b64 v[170:173], v0 offset0:22 offset1:247
	ds_read2_b64 v[166:169], v1 offset0:20 offset1:245
	;; [unrolled: 1-line block ×5, first 2 shown]
	s_waitcnt lgkmcnt(4)
	v_mov_b32_e32 v164, v172
	v_mov_b32_e32 v165, v173
.LBB0_19:
	s_or_b32 exec_lo, exec_lo, s1
	s_waitcnt lgkmcnt(0)
	s_barrier
	buffer_gl0_inv
	buffer_load_dword v246, off, s[16:19], 0 offset:216 ; 4-byte Folded Reload
	v_add_f32_e32 v172, v224, v212
	v_sub_f32_e32 v174, v221, v217
	v_sub_f32_e32 v176, v220, v224
	v_add_f32_e32 v178, v220, v216
	v_sub_f32_e32 v175, v225, v213
	v_fma_f32 v177, -0.5, v172, v182
	v_sub_f32_e32 v172, v216, v212
	v_sub_f32_e32 v179, v224, v220
	v_fma_f32 v229, -0.5, v178, v182
	v_add_f32_e32 v180, v225, v213
	v_fmamk_f32 v228, v174, 0xbf737871, v177
	v_add_f32_e32 v172, v176, v172
	v_fmac_f32_e32 v177, 0x3f737871, v174
	v_sub_f32_e32 v176, v212, v216
	v_fmamk_f32 v178, v175, 0x3f737871, v229
	v_fmac_f32_e32 v228, 0xbf167918, v175
	v_fmac_f32_e32 v229, 0xbf737871, v175
	v_fmac_f32_e32 v177, 0x3f167918, v175
	v_add_f32_e32 v176, v179, v176
	v_add_f32_e32 v175, v183, v221
	v_fma_f32 v232, -0.5, v180, v183
	v_sub_f32_e32 v179, v220, v216
	v_add_f32_e32 v173, v182, v220
	v_fmac_f32_e32 v228, 0x3e9e377a, v172
	v_fmac_f32_e32 v178, 0xbf167918, v174
	;; [unrolled: 1-line block ×4, first 2 shown]
	v_add_f32_e32 v172, v175, v225
	v_fmamk_f32 v175, v179, 0x3f737871, v232
	v_sub_f32_e32 v174, v224, v212
	v_sub_f32_e32 v180, v221, v225
	;; [unrolled: 1-line block ×3, first 2 shown]
	v_fmac_f32_e32 v232, 0xbf737871, v179
	v_add_f32_e32 v173, v173, v224
	v_add_f32_e32 v182, v221, v217
	v_fmac_f32_e32 v175, 0x3f167918, v174
	v_add_f32_e32 v180, v180, v181
	v_fmac_f32_e32 v232, 0xbf167918, v174
	v_add_f32_e32 v173, v173, v212
	v_fma_f32 v212, -0.5, v182, v183
	v_sub_f32_e32 v181, v213, v217
	v_fmac_f32_e32 v175, 0x3e9e377a, v180
	v_fmac_f32_e32 v232, 0x3e9e377a, v180
	v_sub_f32_e32 v180, v225, v221
	v_add_f32_e32 v173, v173, v216
	v_fmac_f32_e32 v178, 0x3e9e377a, v176
	v_fmac_f32_e32 v229, 0x3e9e377a, v176
	v_fmamk_f32 v216, v174, 0xbf737871, v212
	v_add_f32_e32 v176, v204, v200
	v_fmac_f32_e32 v212, 0x3f737871, v174
	v_add_f32_e32 v180, v180, v181
	v_add_f32_e32 v181, v208, v196
	;; [unrolled: 1-line block ×3, first 2 shown]
	v_fma_f32 v174, -0.5, v176, v192
	v_sub_f32_e32 v176, v209, v197
	v_fmac_f32_e32 v216, 0x3f167918, v179
	v_fmac_f32_e32 v212, 0xbf167918, v179
	v_sub_f32_e32 v182, v205, v201
	v_fma_f32 v181, -0.5, v181, v192
	v_add_f32_e32 v183, v172, v217
	v_add_f32_e32 v172, v192, v208
	v_fmamk_f32 v179, v176, 0xbf737871, v174
	v_fmac_f32_e32 v216, 0x3e9e377a, v180
	v_fmac_f32_e32 v212, 0x3e9e377a, v180
	v_sub_f32_e32 v180, v208, v204
	v_sub_f32_e32 v186, v196, v200
	v_fmac_f32_e32 v174, 0x3f737871, v176
	v_fmamk_f32 v187, v182, 0x3f737871, v181
	v_sub_f32_e32 v188, v204, v208
	v_sub_f32_e32 v189, v200, v196
	v_fmac_f32_e32 v181, 0xbf737871, v182
	v_add_f32_e32 v172, v172, v204
	v_fmac_f32_e32 v179, 0xbf167918, v182
	v_add_f32_e32 v180, v180, v186
	v_fmac_f32_e32 v174, 0x3f167918, v182
	v_fmac_f32_e32 v187, 0xbf167918, v176
	v_add_f32_e32 v182, v188, v189
	v_add_f32_e32 v186, v205, v201
	v_fmac_f32_e32 v181, 0x3f167918, v176
	v_add_f32_e32 v176, v209, v197
	v_add_f32_e32 v172, v172, v200
	v_fmac_f32_e32 v179, 0x3e9e377a, v180
	v_fmac_f32_e32 v174, 0x3e9e377a, v180
	;; [unrolled: 1-line block ×3, first 2 shown]
	v_fma_f32 v180, -0.5, v186, v193
	v_sub_f32_e32 v186, v208, v196
	v_fmac_f32_e32 v181, 0x3e9e377a, v182
	v_sub_f32_e32 v182, v204, v200
	v_fma_f32 v176, -0.5, v176, v193
	v_add_f32_e32 v172, v172, v196
	v_add_f32_e32 v188, v193, v209
	v_fmamk_f32 v189, v186, 0x3f737871, v180
	v_sub_f32_e32 v190, v209, v205
	v_sub_f32_e32 v191, v197, v201
	v_fmamk_f32 v193, v182, 0xbf737871, v176
	v_sub_f32_e32 v192, v205, v209
	v_sub_f32_e32 v196, v201, v197
	v_fmac_f32_e32 v189, 0x3f167918, v182
	v_add_f32_e32 v190, v190, v191
	v_fmac_f32_e32 v193, 0x3f167918, v186
	v_fmac_f32_e32 v180, 0xbf737871, v186
	v_add_f32_e32 v191, v192, v196
	v_fmac_f32_e32 v176, 0x3f737871, v182
	;; [unrolled: 3-line block ×3, first 2 shown]
	v_fmac_f32_e32 v193, 0x3e9e377a, v191
	v_fmac_f32_e32 v176, 0xbf167918, v186
	v_mul_f32_e32 v196, 0xbf167918, v189
	v_add_f32_e32 v186, v188, v205
	v_fmac_f32_e32 v180, 0x3e9e377a, v190
	v_mul_f32_e32 v200, 0xbf737871, v193
	v_fmac_f32_e32 v176, 0x3e9e377a, v191
	v_fmac_f32_e32 v196, 0x3f4f1bbd, v179
	v_mul_f32_e32 v179, 0x3f167918, v179
	v_mul_f32_e32 v204, 0xbf167918, v180
	v_fmac_f32_e32 v200, 0x3e9e377a, v187
	v_add_f32_e32 v182, v186, v201
	v_mul_f32_e32 v201, 0xbf737871, v176
	v_mul_f32_e32 v205, 0x3e9e377a, v193
	;; [unrolled: 1-line block ×4, first 2 shown]
	v_add_f32_e32 v186, v178, v200
	v_fmac_f32_e32 v204, 0xbf4f1bbd, v174
	v_fmac_f32_e32 v179, 0x3f4f1bbd, v189
	v_sub_f32_e32 v178, v178, v200
	v_add_f32_e32 v200, v184, v222
	v_add_f32_e32 v197, v182, v197
	v_fmac_f32_e32 v201, 0xbe9e377a, v181
	v_fmac_f32_e32 v205, 0x3f737871, v187
	;; [unrolled: 1-line block ×4, first 2 shown]
	v_add_f32_e32 v190, v173, v172
	v_add_f32_e32 v180, v177, v204
	;; [unrolled: 1-line block ×3, first 2 shown]
	v_sub_f32_e32 v182, v173, v172
	v_add_f32_e32 v173, v226, v214
	v_sub_f32_e32 v174, v177, v204
	v_sub_f32_e32 v177, v175, v179
	v_add_f32_e32 v175, v200, v226
	v_add_f32_e32 v192, v228, v196
	;; [unrolled: 1-line block ×7, first 2 shown]
	v_sub_f32_e32 v183, v183, v197
	v_sub_f32_e32 v176, v228, v196
	;; [unrolled: 1-line block ×4, first 2 shown]
	v_fma_f32 v196, -0.5, v173, v184
	v_sub_f32_e32 v173, v212, v208
	v_add_f32_e32 v208, v175, v214
	v_sub_f32_e32 v175, v232, v213
	v_sub_f32_e32 v201, v223, v219
	;; [unrolled: 1-line block ×5, first 2 shown]
	v_fma_f32 v209, -0.5, v209, v184
	v_fmamk_f32 v197, v201, 0xbf737871, v196
	v_fmac_f32_e32 v196, 0x3f737871, v201
	v_add_f32_e32 v213, v185, v223
	v_add_f32_e32 v204, v204, v205
	v_fmamk_f32 v212, v200, 0x3f737871, v209
	v_fmac_f32_e32 v197, 0xbf167918, v200
	v_sub_f32_e32 v184, v226, v222
	v_sub_f32_e32 v205, v214, v218
	v_fmac_f32_e32 v196, 0x3f167918, v200
	v_add_f32_e32 v216, v227, v215
	v_fmac_f32_e32 v209, 0xbf737871, v200
	v_add_f32_e32 v200, v213, v227
	v_fmac_f32_e32 v197, 0x3e9e377a, v204
	v_fmac_f32_e32 v212, 0xbf167918, v201
	v_add_f32_e32 v205, v184, v205
	v_fma_f32 v184, -0.5, v216, v185
	v_sub_f32_e32 v216, v222, v218
	v_fmac_f32_e32 v196, 0x3e9e377a, v204
	v_fmac_f32_e32 v209, 0x3f167918, v201
	v_add_f32_e32 v200, v200, v215
	v_add_f32_e32 v201, v223, v219
	v_sub_f32_e32 v204, v226, v214
	v_sub_f32_e32 v214, v223, v227
	;; [unrolled: 1-line block ×3, first 2 shown]
	v_add_f32_e32 v208, v208, v218
	v_fmac_f32_e32 v212, 0x3e9e377a, v205
	v_fmamk_f32 v213, v216, 0x3f737871, v184
	v_fmac_f32_e32 v209, 0x3e9e377a, v205
	v_fmac_f32_e32 v185, -0.5, v201
	v_add_f32_e32 v218, v200, v219
	v_add_f32_e32 v200, v214, v217
	v_fmac_f32_e32 v184, 0xbf737871, v216
	v_sub_f32_e32 v201, v227, v223
	v_sub_f32_e32 v205, v215, v219
	v_add_f32_e32 v214, v194, v210
	v_fmac_f32_e32 v213, 0x3f167918, v204
	v_fmamk_f32 v217, v204, 0xbf737871, v185
	v_fmac_f32_e32 v184, 0xbf167918, v204
	v_add_f32_e32 v201, v201, v205
	v_fmac_f32_e32 v185, 0x3f737871, v204
	v_add_f32_e32 v204, v214, v206
	v_add_f32_e32 v205, v206, v202
	v_fmac_f32_e32 v213, 0x3e9e377a, v200
	v_fmac_f32_e32 v217, 0x3f167918, v216
	;; [unrolled: 1-line block ×4, first 2 shown]
	v_add_f32_e32 v200, v204, v202
	v_fma_f32 v205, -0.5, v205, v194
	v_add_f32_e32 v204, v210, v198
	v_sub_f32_e32 v214, v211, v199
	v_fmac_f32_e32 v217, 0x3e9e377a, v201
	v_fmac_f32_e32 v185, 0x3e9e377a, v201
	v_add_f32_e32 v215, v200, v198
	v_sub_f32_e32 v200, v207, v203
	v_fma_f32 v194, -0.5, v204, v194
	v_fmamk_f32 v201, v214, 0xbf737871, v205
	v_sub_f32_e32 v204, v210, v206
	v_sub_f32_e32 v216, v198, v202
	v_fmac_f32_e32 v205, 0x3f737871, v214
	v_fmamk_f32 v219, v200, 0x3f737871, v194
	v_fmac_f32_e32 v201, 0xbf167918, v200
	v_sub_f32_e32 v220, v206, v210
	v_add_f32_e32 v204, v204, v216
	v_fmac_f32_e32 v205, 0x3f167918, v200
	v_sub_f32_e32 v221, v202, v198
	v_fmac_f32_e32 v194, 0xbf737871, v200
	v_add_f32_e32 v200, v207, v203
	v_fmac_f32_e32 v201, 0x3e9e377a, v204
	v_fmac_f32_e32 v205, 0x3e9e377a, v204
	v_add_f32_e32 v204, v211, v199
	v_fmac_f32_e32 v219, 0xbf167918, v214
	v_add_f32_e32 v216, v220, v221
	v_fmac_f32_e32 v194, 0x3f167918, v214
	v_fma_f32 v214, -0.5, v200, v195
	v_add_f32_e32 v200, v195, v211
	v_sub_f32_e32 v202, v206, v202
	v_fmac_f32_e32 v195, -0.5, v204
	v_fmac_f32_e32 v219, 0x3e9e377a, v216
	v_sub_f32_e32 v198, v210, v198
	v_fmac_f32_e32 v194, 0x3e9e377a, v216
	v_sub_f32_e32 v204, v211, v207
	v_sub_f32_e32 v206, v199, v203
	v_fmamk_f32 v216, v202, 0xbf737871, v195
	v_sub_f32_e32 v211, v207, v211
	v_sub_f32_e32 v220, v203, v199
	v_fmac_f32_e32 v195, 0x3f737871, v202
	v_fmamk_f32 v210, v198, 0x3f737871, v214
	v_add_f32_e32 v204, v204, v206
	v_fmac_f32_e32 v214, 0xbf737871, v198
	v_add_f32_e32 v206, v211, v220
	v_fmac_f32_e32 v195, 0xbf167918, v198
	v_fmac_f32_e32 v210, 0x3f167918, v202
	;; [unrolled: 1-line block ×4, first 2 shown]
	v_add_f32_e32 v198, v200, v207
	v_fmac_f32_e32 v195, 0x3e9e377a, v206
	v_fmac_f32_e32 v210, 0x3e9e377a, v204
	;; [unrolled: 1-line block ×4, first 2 shown]
	v_add_f32_e32 v198, v198, v203
	v_mul_f32_e32 v221, 0xbf737871, v195
	v_mul_f32_e32 v195, 0xbe9e377a, v195
	;; [unrolled: 1-line block ×5, first 2 shown]
	v_fmac_f32_e32 v221, 0xbe9e377a, v194
	v_fmac_f32_e32 v195, 0x3f737871, v194
	v_add_f32_e32 v194, v166, v170
	v_fmac_f32_e32 v211, 0x3f4f1bbd, v201
	v_mul_f32_e32 v225, 0x3e9e377a, v216
	v_mul_f32_e32 v226, 0xbf4f1bbd, v214
	v_add_f32_e32 v222, v198, v199
	v_add_f32_e32 v194, v194, v160
	v_fmac_f32_e32 v220, 0x3e9e377a, v219
	v_mul_f32_e32 v223, 0xbf167918, v214
	v_add_f32_e32 v204, v197, v211
	v_fmac_f32_e32 v224, 0x3f4f1bbd, v210
	v_fmac_f32_e32 v225, 0x3f737871, v219
	;; [unrolled: 1-line block ×3, first 2 shown]
	v_sub_f32_e32 v210, v197, v211
	v_add_f32_e32 v197, v160, v0
	v_add_f32_e32 v194, v194, v0
	;; [unrolled: 1-line block ×5, first 2 shown]
	v_fmac_f32_e32 v223, 0xbf4f1bbd, v205
	v_add_f32_e32 v203, v218, v222
	v_add_f32_e32 v205, v213, v224
	;; [unrolled: 1-line block ×5, first 2 shown]
	v_sub_f32_e32 v208, v208, v215
	v_sub_f32_e32 v212, v212, v220
	;; [unrolled: 1-line block ×5, first 2 shown]
	v_fma_f32 v218, -0.5, v197, v166
	v_sub_f32_e32 v219, v171, v5
	v_sub_f32_e32 v213, v217, v225
	v_sub_f32_e32 v215, v185, v195
	v_sub_f32_e32 v217, v184, v226
	v_add_f32_e32 v220, v194, v4
	v_add_f32_e32 v184, v161, v1
	v_sub_f32_e32 v185, v170, v160
	v_sub_f32_e32 v194, v4, v0
	v_add_f32_e32 v195, v167, v171
	v_add_f32_e32 v206, v196, v223
	v_sub_f32_e32 v216, v196, v223
	v_fmamk_f32 v221, v219, 0xbf737871, v218
	v_sub_f32_e32 v223, v161, v1
	v_fmac_f32_e32 v218, 0x3f737871, v219
	v_fma_f32 v240, -0.5, v184, v167
	v_sub_f32_e32 v226, v170, v4
	v_add_f32_e32 v184, v185, v194
	v_add_f32_e32 v185, v195, v161
	v_fmac_f32_e32 v221, 0xbf167918, v223
	v_fmac_f32_e32 v218, 0x3f167918, v223
	s_waitcnt vmcnt(0)
	ds_write_b128 v246, v[190:193]
	ds_write_b128 v246, v[186:189] offset:16
	ds_write_b128 v246, v[180:183] offset:32
	;; [unrolled: 1-line block ×4, first 2 shown]
	buffer_load_dword v172, off, s[16:19], 0 offset:212 ; 4-byte Folded Reload
	v_fmamk_f32 v222, v226, 0x3f737871, v240
	v_sub_f32_e32 v245, v160, v0
	v_sub_f32_e32 v194, v171, v161
	;; [unrolled: 1-line block ×3, first 2 shown]
	v_add_f32_e32 v185, v185, v1
	v_fmac_f32_e32 v240, 0xbf737871, v226
	v_fmac_f32_e32 v221, 0x3e9e377a, v184
	v_fmac_f32_e32 v218, 0x3e9e377a, v184
	v_fmac_f32_e32 v222, 0x3f167918, v245
	v_add_f32_e32 v184, v194, v195
	v_add_f32_e32 v224, v185, v5
	;; [unrolled: 1-line block ×4, first 2 shown]
	v_fmac_f32_e32 v240, 0xbf167918, v245
	v_add_f32_e32 v195, v163, v3
	v_fmac_f32_e32 v222, 0x3e9e377a, v184
	v_add_f32_e32 v185, v185, v162
	v_fma_f32 v194, -0.5, v194, v168
	v_sub_f32_e32 v228, v165, v7
	v_fmac_f32_e32 v240, 0x3e9e377a, v184
	v_fma_f32 v184, -0.5, v195, v169
	v_sub_f32_e32 v229, v164, v6
	v_add_f32_e32 v185, v185, v2
	v_fmamk_f32 v195, v228, 0xbf737871, v194
	v_sub_f32_e32 v232, v163, v3
	v_sub_f32_e32 v196, v164, v162
	v_fmamk_f32 v197, v229, 0x3f737871, v184
	v_sub_f32_e32 v233, v162, v2
	v_sub_f32_e32 v227, v165, v163
	;; [unrolled: 1-line block ×3, first 2 shown]
	v_fmac_f32_e32 v184, 0xbf737871, v229
	v_sub_f32_e32 v242, v6, v2
	v_fmac_f32_e32 v194, 0x3f737871, v228
	v_add_f32_e32 v225, v185, v6
	v_add_f32_e32 v185, v227, v241
	v_fmac_f32_e32 v184, 0xbf167918, v233
	v_add_f32_e32 v196, v196, v242
	v_add_f32_e32 v227, v169, v165
	v_fmac_f32_e32 v197, 0x3f167918, v233
	v_fmac_f32_e32 v195, 0xbf167918, v232
	v_fmac_f32_e32 v194, 0x3f167918, v232
	v_fmac_f32_e32 v184, 0x3e9e377a, v185
	v_add_f32_e32 v242, v227, v163
	v_fmac_f32_e32 v197, 0x3e9e377a, v185
	v_fmac_f32_e32 v195, 0x3e9e377a, v196
	;; [unrolled: 1-line block ×3, first 2 shown]
	v_mul_f32_e32 v227, 0xbf167918, v184
	v_mul_f32_e32 v241, 0xbf4f1bbd, v184
	v_add_f32_e32 v184, v242, v3
	v_mul_f32_e32 v242, 0xbf167918, v197
	v_mul_f32_e32 v243, 0x3f167918, v195
	v_fmac_f32_e32 v227, 0xbf4f1bbd, v194
	v_fmac_f32_e32 v241, 0x3f167918, v194
	v_add_f32_e32 v244, v184, v7
	v_fmac_f32_e32 v242, 0x3f4f1bbd, v195
	v_fmac_f32_e32 v243, 0x3f4f1bbd, v197
	v_add_f32_e32 v194, v218, v227
	v_add_f32_e32 v195, v240, v241
	v_sub_f32_e32 v196, v220, v225
	v_sub_f32_e32 v184, v221, v242
	;; [unrolled: 1-line block ×4, first 2 shown]
	s_waitcnt vmcnt(0)
	ds_write_b128 v172, v[202:205]
	ds_write_b128 v172, v[198:201] offset:16
	ds_write_b128 v172, v[206:209] offset:32
	;; [unrolled: 1-line block ×4, first 2 shown]
	s_and_saveexec_b32 s1, vcc_lo
	s_cbranch_execz .LBB0_21
; %bb.20:
	v_add_f32_e32 v172, v165, v7
	v_sub_f32_e32 v162, v162, v164
	v_sub_f32_e32 v2, v2, v6
	v_sub_f32_e32 v163, v163, v165
	v_sub_f32_e32 v3, v3, v7
	v_fmac_f32_e32 v169, -0.5, v172
	v_sub_f32_e32 v0, v0, v4
	v_add_f32_e32 v2, v162, v2
	v_add_f32_e32 v162, v170, v4
	;; [unrolled: 1-line block ×3, first 2 shown]
	v_fmamk_f32 v7, v233, 0x3f737871, v169
	v_fmac_f32_e32 v169, 0xbf737871, v233
	v_add_f32_e32 v174, v164, v6
	v_fmac_f32_e32 v166, -0.5, v162
	v_sub_f32_e32 v161, v161, v171
	v_fmac_f32_e32 v7, 0xbf167918, v229
	v_fmac_f32_e32 v169, 0x3f167918, v229
	v_add_f32_e32 v171, v171, v5
	v_fmac_f32_e32 v168, -0.5, v174
	v_sub_f32_e32 v1, v1, v5
	v_fmac_f32_e32 v7, 0x3e9e377a, v3
	v_fmac_f32_e32 v169, 0x3e9e377a, v3
	v_sub_f32_e32 v3, v160, v170
	v_fmamk_f32 v160, v223, 0xbf737871, v166
	v_fmac_f32_e32 v166, 0x3f737871, v223
	v_fmac_f32_e32 v167, -0.5, v171
	v_fmamk_f32 v6, v232, 0xbf737871, v168
	v_add_f32_e32 v0, v3, v0
	v_fmac_f32_e32 v160, 0x3f167918, v219
	v_fmac_f32_e32 v166, 0xbf167918, v219
	;; [unrolled: 1-line block ×3, first 2 shown]
	v_fmamk_f32 v5, v245, 0x3f737871, v167
	v_fmac_f32_e32 v6, 0x3f167918, v228
	v_fmac_f32_e32 v160, 0x3e9e377a, v0
	;; [unrolled: 1-line block ×3, first 2 shown]
	buffer_load_dword v0, off, s[16:19], 0 offset:272 ; 4-byte Folded Reload
	v_fmac_f32_e32 v167, 0xbf737871, v245
	v_fmac_f32_e32 v168, 0xbf167918, v228
	v_add_f32_e32 v1, v161, v1
	v_fmac_f32_e32 v5, 0xbf167918, v226
	v_fmac_f32_e32 v6, 0x3e9e377a, v2
	v_mul_f32_e32 v161, 0xbe9e377a, v7
	v_fmac_f32_e32 v167, 0x3f167918, v226
	v_fmac_f32_e32 v168, 0x3e9e377a, v2
	v_mul_f32_e32 v2, 0x3e9e377a, v169
	v_mul_f32_e32 v162, 0xbf737871, v7
	;; [unrolled: 1-line block ×3, first 2 shown]
	v_fmac_f32_e32 v5, 0x3e9e377a, v1
	v_fmac_f32_e32 v161, 0x3f737871, v6
	;; [unrolled: 1-line block ×6, first 2 shown]
	v_sub_f32_e32 v171, v5, v161
	v_add_f32_e32 v3, v5, v161
	v_add_f32_e32 v7, v222, v243
	v_add_f32_e32 v5, v224, v244
	v_add_f32_e32 v6, v221, v242
	v_add_f32_e32 v4, v220, v225
	v_sub_f32_e32 v187, v167, v2
	v_add_f32_e32 v1, v167, v2
	v_add_f32_e32 v2, v160, v162
	v_sub_f32_e32 v186, v166, v163
	v_sub_f32_e32 v173, v240, v241
	;; [unrolled: 1-line block ×4, first 2 shown]
	s_waitcnt vmcnt(0)
	v_lshlrev_b32_e32 v161, 3, v0
	v_add_f32_e32 v0, v166, v163
	ds_write_b128 v161, v[4:7]
	ds_write_b128 v161, v[0:3] offset:16
	ds_write_b128 v161, v[194:197] offset:32
	;; [unrolled: 1-line block ×4, first 2 shown]
.LBB0_21:
	s_or_b32 exec_lo, exec_lo, s1
	v_add_nc_u32_e32 v0, 0x1400, v236
	s_waitcnt lgkmcnt(0)
	s_barrier
	buffer_gl0_inv
	ds_read2_b64 v[160:163], v236 offset1:90
	ds_read2_b64 v[198:201], v0 offset0:110 offset1:200
	v_add_nc_u32_e32 v0, 0x2c00, v236
	v_add_nc_u32_e32 v1, 0x400, v236
	;; [unrolled: 1-line block ×5, first 2 shown]
	ds_read2_b64 v[202:205], v0 offset0:92 offset1:182
	ds_read2_b64 v[164:167], v1 offset0:52 offset1:142
	;; [unrolled: 1-line block ×5, first 2 shown]
	v_add_nc_u32_e32 v4, 0x2000, v236
	v_add_nc_u32_e32 v5, 0x3800, v236
	;; [unrolled: 1-line block ×5, first 2 shown]
	ds_read2_b64 v[180:183], v4 offset0:86 offset1:176
	ds_read2_b64 v[176:179], v5 offset0:68 offset1:158
	;; [unrolled: 1-line block ×5, first 2 shown]
	s_and_saveexec_b32 s1, s0
	s_cbranch_execz .LBB0_23
; %bb.22:
	ds_read_b64 v[194:195], v236 offset:5760
	ds_read_b64 v[196:197], v236 offset:11760
	;; [unrolled: 1-line block ×3, first 2 shown]
.LBB0_23:
	s_or_b32 exec_lo, exec_lo, s1
	s_waitcnt lgkmcnt(10)
	v_mul_f32_e32 v206, v37, v199
	v_mul_f32_e32 v37, v37, v198
	s_waitcnt lgkmcnt(0)
	s_barrier
	buffer_gl0_inv
	v_fmac_f32_e32 v206, v36, v198
	v_fma_f32 v36, v36, v199, -v37
	v_mul_f32_e32 v37, v39, v203
	v_mul_f32_e32 v39, v39, v202
	v_fmac_f32_e32 v37, v38, v202
	v_fma_f32 v38, v38, v203, -v39
	v_mul_f32_e32 v39, v29, v201
	v_mul_f32_e32 v29, v29, v200
	;; [unrolled: 4-line block ×5, first 2 shown]
	v_add_f32_e32 v23, v28, v30
	v_fmac_f32_e32 v191, v22, v186
	v_fma_f32 v186, v22, v187, -v20
	v_mul_f32_e32 v187, v13, v193
	v_mul_f32_e32 v13, v13, v192
	v_add_f32_e32 v20, v163, v28
	v_fmac_f32_e32 v163, -0.5, v23
	v_sub_f32_e32 v22, v28, v30
	v_fmac_f32_e32 v187, v12, v192
	v_fma_f32 v192, v12, v193, -v13
	v_mul_f32_e32 v193, v15, v189
	v_mul_f32_e32 v12, v15, v188
	v_mul_f32_e32 v13, v11, v184
	v_add_f32_e32 v15, v160, v206
	v_add_f32_e32 v20, v20, v30
	v_fmac_f32_e32 v193, v14, v188
	v_fma_f32 v188, v14, v189, -v12
	v_mul_f32_e32 v189, v41, v181
	v_mul_f32_e32 v12, v41, v180
	;; [unrolled: 1-line block ×4, first 2 shown]
	v_add_f32_e32 v15, v15, v37
	v_fmac_f32_e32 v189, v40, v180
	v_fma_f32 v40, v40, v181, -v12
	v_mul_f32_e32 v12, v43, v176
	v_fmac_f32_e32 v41, v42, v176
	v_mul_f32_e32 v43, v33, v183
	v_mul_f32_e32 v176, v35, v179
	v_add_f32_e32 v30, v0, v189
	v_fma_f32 v42, v42, v177, -v12
	v_mul_f32_e32 v12, v33, v182
	v_mul_f32_e32 v177, v25, v173
	v_fmac_f32_e32 v176, v34, v178
	v_fmac_f32_e32 v43, v32, v182
	v_add_f32_e32 v28, v167, v192
	v_fma_f32 v33, v32, v183, -v12
	v_mul_f32_e32 v12, v35, v178
	v_fmac_f32_e32 v177, v24, v172
	v_sub_f32_e32 v32, v40, v42
	v_add_f32_e32 v35, v43, v176
	v_add_f32_e32 v28, v28, v188
	v_fma_f32 v34, v34, v179, -v12
	v_mul_f32_e32 v12, v25, v172
	v_sub_f32_e32 v25, v31, v191
	v_fma_f32 v172, v24, v173, -v12
	v_mul_f32_e32 v173, v27, v169
	v_mul_f32_e32 v12, v27, v168
	v_sub_f32_e32 v24, v39, v29
	v_add_f32_e32 v27, v192, v188
	v_fmac_f32_e32 v173, v26, v168
	v_fma_f32 v168, v26, v169, -v12
	v_mul_f32_e32 v169, v17, v175
	v_mul_f32_e32 v12, v17, v174
	v_add_f32_e32 v26, v166, v187
	v_fmac_f32_e32 v167, -0.5, v27
	v_fmac_f32_e32 v169, v16, v174
	v_fma_f32 v174, v16, v175, -v12
	v_mul_f32_e32 v175, v19, v171
	v_mul_f32_e32 v12, v19, v170
	v_sub_f32_e32 v19, v206, v37
	v_add_f32_e32 v16, v161, v36
	v_add_f32_e32 v27, v26, v193
	v_fmac_f32_e32 v175, v18, v170
	v_fma_f32 v170, v18, v171, -v12
	v_mul_f32_e32 v12, v11, v185
	v_mul_f32_e32 v11, v9, v197
	v_fma_f32 v9, v10, v185, -v13
	v_add_f32_e32 v18, v39, v29
	v_add_f32_e32 v16, v16, v38
	v_fmac_f32_e32 v12, v10, v184
	v_add_f32_e32 v10, v206, v37
	v_fmac_f32_e32 v11, v8, v196
	v_fma_f32 v8, v8, v197, -v14
	v_add_f32_e32 v14, v36, v38
	v_add_f32_e32 v37, v3, v33
	v_fma_f32 v13, -0.5, v10, v160
	buffer_load_dword v160, off, s[16:19], 0 offset:208 ; 4-byte Folded Reload
	v_sub_f32_e32 v10, v36, v38
	v_fma_f32 v14, -0.5, v14, v161
	v_add_f32_e32 v36, v2, v43
	v_fma_f32 v2, -0.5, v35, v2
	v_add_f32_e32 v35, v33, v34
	v_fmamk_f32 v17, v10, 0xbf5db3d7, v13
	v_fmac_f32_e32 v13, 0x3f5db3d7, v10
	v_add_f32_e32 v10, v162, v39
	v_fma_f32 v162, -0.5, v18, v162
	v_fmamk_f32 v18, v19, 0x3f5db3d7, v14
	v_fmac_f32_e32 v14, 0xbf5db3d7, v19
	v_add_f32_e32 v38, v177, v173
	v_add_f32_e32 v19, v10, v29
	;; [unrolled: 1-line block ×3, first 2 shown]
	v_fmamk_f32 v21, v22, 0xbf5db3d7, v162
	v_fmac_f32_e32 v162, 0x3f5db3d7, v22
	v_fmamk_f32 v22, v24, 0x3f5db3d7, v163
	v_fmac_f32_e32 v163, 0xbf5db3d7, v24
	v_fma_f32 v23, -0.5, v10, v164
	v_sub_f32_e32 v10, v190, v186
	v_sub_f32_e32 v29, v187, v193
	v_fmac_f32_e32 v3, -0.5, v35
	v_sub_f32_e32 v39, v43, v176
	v_add_f32_e32 v43, v11, v12
	v_fmamk_f32 v26, v29, 0x3f5db3d7, v167
	v_fmac_f32_e32 v167, 0xbf5db3d7, v29
	v_add_f32_e32 v29, v30, v41
	s_waitcnt vmcnt(0)
	ds_write2_b64 v160, v[15:16], v[17:18] offset1:10
	v_add_f32_e32 v16, v164, v31
	v_add_f32_e32 v17, v190, v186
	v_fmamk_f32 v15, v10, 0xbf5db3d7, v23
	v_fmac_f32_e32 v23, 0x3f5db3d7, v10
	v_add_f32_e32 v10, v187, v193
	v_add_f32_e32 v31, v1, v40
	v_fma_f32 v24, -0.5, v17, v165
	v_add_f32_e32 v17, v16, v191
	v_add_f32_e32 v16, v165, v190
	v_fma_f32 v166, -0.5, v10, v166
	v_sub_f32_e32 v10, v192, v188
	v_add_f32_e32 v30, v31, v42
	ds_write_b64 v160, v[13:14] offset:160
	v_add_f32_e32 v18, v16, v186
	v_fmamk_f32 v16, v25, 0x3f5db3d7, v24
	v_fmac_f32_e32 v24, 0xbf5db3d7, v25
	v_fmamk_f32 v25, v10, 0xbf5db3d7, v166
	v_fmac_f32_e32 v166, 0x3f5db3d7, v10
	v_add_f32_e32 v10, v189, v41
	v_add_f32_e32 v14, v172, v168
	v_fma_f32 v160, -0.5, v43, v194
	v_sub_f32_e32 v43, v8, v9
	v_fma_f32 v0, -0.5, v10, v0
	v_add_f32_e32 v10, v40, v42
	v_sub_f32_e32 v42, v174, v170
	v_add_f32_e32 v40, v7, v174
	v_fmamk_f32 v164, v43, 0xbf5db3d7, v160
	v_fmamk_f32 v31, v32, 0xbf5db3d7, v0
	v_fma_f32 v1, -0.5, v10, v1
	v_sub_f32_e32 v10, v189, v41
	v_fmac_f32_e32 v0, 0x3f5db3d7, v32
	v_add_f32_e32 v40, v40, v170
	v_fmac_f32_e32 v160, 0x3f5db3d7, v43
	v_fmamk_f32 v32, v10, 0x3f5db3d7, v1
	v_fmac_f32_e32 v1, 0xbf5db3d7, v10
	v_sub_f32_e32 v10, v33, v34
	v_add_f32_e32 v34, v37, v34
	v_fma_f32 v37, -0.5, v38, v4
	v_add_f32_e32 v33, v36, v176
	v_fmamk_f32 v36, v39, 0x3f5db3d7, v3
	v_fmamk_f32 v35, v10, 0xbf5db3d7, v2
	v_fmac_f32_e32 v2, 0x3f5db3d7, v10
	v_sub_f32_e32 v10, v172, v168
	v_fmac_f32_e32 v3, 0xbf5db3d7, v39
	v_fma_f32 v38, -0.5, v14, v5
	v_add_f32_e32 v14, v169, v175
	v_sub_f32_e32 v39, v177, v173
	v_fmamk_f32 v13, v10, 0xbf5db3d7, v37
	v_fmac_f32_e32 v37, 0x3f5db3d7, v10
	v_add_f32_e32 v10, v5, v172
	v_add_f32_e32 v4, v4, v177
	;; [unrolled: 1-line block ×4, first 2 shown]
	v_fma_f32 v6, -0.5, v14, v6
	v_fmamk_f32 v14, v39, 0x3f5db3d7, v38
	v_fmac_f32_e32 v38, 0xbf5db3d7, v39
	v_add_f32_e32 v4, v4, v173
	v_add_f32_e32 v39, v10, v175
	;; [unrolled: 1-line block ×3, first 2 shown]
	v_fmamk_f32 v41, v42, 0xbf5db3d7, v6
	v_fmac_f32_e32 v6, 0x3f5db3d7, v42
	v_add_f32_e32 v42, v8, v9
	v_sub_f32_e32 v168, v11, v12
	v_fmac_f32_e32 v7, -0.5, v10
	v_sub_f32_e32 v10, v169, v175
	v_fma_f32 v161, -0.5, v42, v195
	v_fmamk_f32 v42, v10, 0x3f5db3d7, v7
	v_fmac_f32_e32 v7, 0xbf5db3d7, v10
	buffer_load_dword v10, off, s[16:19], 0 offset:204 ; 4-byte Folded Reload
	v_fmamk_f32 v165, v168, 0x3f5db3d7, v161
	v_fmac_f32_e32 v161, 0xbf5db3d7, v168
	s_waitcnt vmcnt(0)
	ds_write2_b64 v10, v[19:20], v[21:22] offset1:10
	ds_write_b64 v10, v[162:163] offset:160
	buffer_load_dword v10, off, s[16:19], 0 offset:200 ; 4-byte Folded Reload
	s_waitcnt vmcnt(0)
	ds_write2_b64 v10, v[17:18], v[15:16] offset1:10
	ds_write_b64 v10, v[23:24] offset:160
	buffer_load_dword v10, off, s[16:19], 0 offset:196 ; 4-byte Folded Reload
	;; [unrolled: 4-line block ×6, first 2 shown]
	s_waitcnt vmcnt(0)
	ds_write2_b64 v0, v[39:40], v[41:42] offset1:10
	ds_write_b64 v0, v[6:7] offset:160
	s_and_saveexec_b32 s1, s0
	s_cbranch_execz .LBB0_25
; %bb.24:
	v_add_f32_e32 v0, v195, v8
	v_add_f32_e32 v2, v194, v11
	v_mov_b32_e32 v3, 3
	v_add_f32_e32 v1, v0, v9
	v_add_f32_e32 v0, v2, v12
	buffer_load_dword v2, off, s[16:19], 0 offset:176 ; 4-byte Folded Reload
	s_waitcnt vmcnt(0)
	v_lshlrev_b32_sdwa v2, v3, v2 dst_sel:DWORD dst_unused:UNUSED_PAD src0_sel:DWORD src1_sel:WORD_0
	ds_write2_b64 v2, v[0:1], v[164:165] offset1:10
	ds_write_b64 v2, v[160:161] offset:160
.LBB0_25:
	s_or_b32 exec_lo, exec_lo, s1
	v_add_nc_u32_e32 v18, 0x800, v236
	v_add_nc_u32_e32 v21, 0x1800, v236
	;; [unrolled: 1-line block ×3, first 2 shown]
	s_waitcnt lgkmcnt(0)
	s_barrier
	buffer_gl0_inv
	ds_read2_b64 v[0:3], v18 offset0:104 offset1:194
	ds_read2_b64 v[4:7], v236 offset1:90
	ds_read2_b64 v[12:15], v21 offset0:132 offset1:222
	ds_read2_b64 v[31:34], v8 offset0:108 offset1:198
	v_add_nc_u32_e32 v19, 0x3800, v236
	v_add_nc_u32_e32 v20, 0x1000, v236
	;; [unrolled: 1-line block ×6, first 2 shown]
	ds_read_b64 v[16:17], v236 offset:17280
	ds_read2_b64 v[27:30], v19 offset0:8 offset1:98
	ds_read2_b64 v[35:38], v20 offset0:28 offset1:118
	;; [unrolled: 1-line block ×6, first 2 shown]
	v_add_nc_u32_e32 v26, 0x1400, v236
	v_add_nc_u32_e32 v25, 0x3000, v236
	ds_read2_b64 v[174:177], v26 offset0:80 offset1:170
	ds_read2_b64 v[178:181], v25 offset0:84 offset1:174
	s_waitcnt lgkmcnt(0)
	s_barrier
	buffer_gl0_inv
	v_mul_f32_e32 v43, v57, v3
	v_mul_f32_e32 v57, v57, v2
	;; [unrolled: 1-line block ×3, first 2 shown]
	v_fmac_f32_e32 v43, v56, v2
	v_mul_f32_e32 v2, v59, v12
	v_mul_f32_e32 v59, v53, v34
	;; [unrolled: 1-line block ×3, first 2 shown]
	v_fma_f32 v56, v56, v3, -v57
	v_mul_f32_e32 v3, v49, v35
	v_fma_f32 v57, v58, v13, -v2
	v_fmac_f32_e32 v59, v52, v33
	v_fma_f32 v34, v52, v34, -v53
	v_mul_f32_e32 v2, v55, v27
	v_mul_f32_e32 v52, v49, v36
	;; [unrolled: 1-line block ×4, first 2 shown]
	v_fmac_f32_e32 v163, v58, v12
	v_fma_f32 v53, v54, v28, -v2
	v_fmac_f32_e32 v52, v48, v35
	v_fma_f32 v48, v48, v36, -v3
	v_mul_f32_e32 v2, v51, v14
	v_mul_f32_e32 v51, v45, v40
	;; [unrolled: 1-line block ×3, first 2 shown]
	v_fmac_f32_e32 v13, v54, v27
	v_mul_f32_e32 v45, v47, v30
	v_mul_f32_e32 v12, v47, v29
	v_fma_f32 v47, v50, v15, -v2
	v_fmac_f32_e32 v51, v44, v39
	v_fma_f32 v44, v44, v40, -v3
	v_mul_f32_e32 v54, v81, v38
	v_mul_f32_e32 v2, v81, v37
	;; [unrolled: 1-line block ×4, first 2 shown]
	v_fmac_f32_e32 v45, v46, v29
	v_fmac_f32_e32 v54, v80, v37
	v_fma_f32 v80, v80, v38, -v2
	v_fma_f32 v81, v82, v167, -v3
	v_mul_f32_e32 v2, v77, v41
	v_mul_f32_e32 v77, v79, v171
	;; [unrolled: 1-line block ×3, first 2 shown]
	v_fma_f32 v46, v46, v30, -v12
	v_fmac_f32_e32 v58, v76, v41
	v_mul_f32_e32 v79, v73, v175
	v_mul_f32_e32 v12, v73, v174
	v_fma_f32 v73, v76, v42, -v2
	v_fmac_f32_e32 v77, v78, v170
	v_fma_f32 v76, v78, v171, -v3
	v_mul_f32_e32 v78, v75, v169
	v_mul_f32_e32 v2, v75, v168
	;; [unrolled: 1-line block ×4, first 2 shown]
	v_fmac_f32_e32 v79, v72, v174
	v_fmac_f32_e32 v78, v74, v168
	v_fma_f32 v74, v74, v169, -v2
	v_mul_f32_e32 v2, v71, v172
	v_fma_f32 v72, v72, v175, -v12
	v_fmac_f32_e32 v75, v68, v178
	v_fma_f32 v68, v68, v179, -v3
	v_mul_f32_e32 v3, v65, v176
	v_mul_f32_e32 v12, v67, v31
	;; [unrolled: 1-line block ×3, first 2 shown]
	v_fma_f32 v65, v70, v173, -v2
	v_add_f32_e32 v2, v163, v59
	v_mul_f32_e32 v29, v67, v32
	v_fma_f32 v27, v64, v177, -v3
	v_fma_f32 v28, v66, v32, -v12
	v_mul_f32_e32 v3, v61, v180
	v_add_f32_e32 v12, v4, v43
	v_fma_f32 v2, -0.5, v2, v4
	v_sub_f32_e32 v15, v56, v53
	v_add_f32_e32 v36, v43, v13
	v_fmac_f32_e32 v29, v66, v31
	v_mul_f32_e32 v32, v61, v181
	v_mul_f32_e32 v61, v63, v17
	v_fma_f32 v31, v60, v181, -v3
	v_add_f32_e32 v3, v12, v163
	v_fmac_f32_e32 v49, v50, v14
	v_fmamk_f32 v12, v15, 0xbf737871, v2
	v_sub_f32_e32 v35, v57, v34
	v_sub_f32_e32 v14, v43, v163
	v_sub_f32_e32 v33, v13, v59
	v_fma_f32 v4, -0.5, v36, v4
	v_fmac_f32_e32 v2, 0x3f737871, v15
	v_add_f32_e32 v36, v5, v56
	v_fmac_f32_e32 v61, v62, v16
	v_mul_f32_e32 v16, v63, v16
	v_add_f32_e32 v3, v3, v59
	v_fmac_f32_e32 v12, 0xbf167918, v35
	v_add_f32_e32 v37, v14, v33
	v_fmamk_f32 v14, v35, 0x3f737871, v4
	v_fmac_f32_e32 v2, 0x3f167918, v35
	v_fmac_f32_e32 v4, 0xbf737871, v35
	v_add_f32_e32 v35, v36, v57
	v_fma_f32 v33, v62, v17, -v16
	v_add_f32_e32 v16, v3, v13
	v_sub_f32_e32 v3, v163, v43
	v_sub_f32_e32 v17, v59, v13
	v_add_f32_e32 v38, v57, v34
	v_fmac_f32_e32 v14, 0xbf167918, v15
	v_fmac_f32_e32 v4, 0x3f167918, v15
	v_add_f32_e32 v15, v35, v34
	v_add_f32_e32 v35, v56, v53
	;; [unrolled: 1-line block ×3, first 2 shown]
	v_fma_f32 v3, -0.5, v38, v5
	v_sub_f32_e32 v38, v43, v13
	v_fmac_f32_e32 v12, 0x3e9e377a, v37
	v_fmac_f32_e32 v2, 0x3e9e377a, v37
	v_sub_f32_e32 v36, v163, v59
	v_sub_f32_e32 v37, v56, v57
	v_sub_f32_e32 v39, v53, v34
	v_fma_f32 v5, -0.5, v35, v5
	v_fmamk_f32 v13, v38, 0x3f737871, v3
	v_fmac_f32_e32 v14, 0x3e9e377a, v17
	v_fmac_f32_e32 v4, 0x3e9e377a, v17
	v_add_f32_e32 v17, v15, v53
	v_add_f32_e32 v35, v37, v39
	v_fmamk_f32 v15, v36, 0xbf737871, v5
	v_sub_f32_e32 v37, v57, v56
	v_sub_f32_e32 v34, v34, v53
	v_fmac_f32_e32 v5, 0x3f737871, v36
	v_fmac_f32_e32 v3, 0xbf737871, v38
	;; [unrolled: 1-line block ×4, first 2 shown]
	v_add_f32_e32 v37, v37, v34
	v_fmac_f32_e32 v5, 0xbf167918, v38
	v_fmac_f32_e32 v3, 0xbf167918, v36
	;; [unrolled: 1-line block ×3, first 2 shown]
	v_add_f32_e32 v40, v6, v52
	v_fmac_f32_e32 v15, 0x3e9e377a, v37
	v_fmac_f32_e32 v5, 0x3e9e377a, v37
	;; [unrolled: 1-line block ×3, first 2 shown]
	ds_write2_b64 v247, v[16:17], v[12:13] offset1:30
	ds_write2_b64 v247, v[14:15], v[4:5] offset0:60 offset1:90
	ds_write_b64 v247, v[2:3] offset:960
	buffer_load_dword v2, off, s[16:19], 0 offset:228 ; 4-byte Folded Reload
	v_add_f32_e32 v39, v49, v51
	v_add_f32_e32 v35, v40, v49
	v_add_f32_e32 v43, v52, v45
	v_sub_f32_e32 v41, v47, v44
	v_sub_f32_e32 v40, v52, v49
	v_fma_f32 v34, -0.5, v39, v6
	v_sub_f32_e32 v39, v48, v46
	v_add_f32_e32 v35, v35, v51
	v_sub_f32_e32 v42, v45, v51
	v_fma_f32 v6, -0.5, v43, v6
	v_sub_f32_e32 v37, v51, v45
	v_fmamk_f32 v36, v39, 0xbf737871, v34
	v_fmac_f32_e32 v34, 0x3f737871, v39
	v_add_f32_e32 v38, v35, v45
	v_sub_f32_e32 v35, v49, v52
	v_add_f32_e32 v43, v7, v48
	v_add_f32_e32 v50, v47, v44
	v_fmac_f32_e32 v36, 0xbf167918, v41
	v_add_f32_e32 v42, v40, v42
	v_fmamk_f32 v40, v41, 0x3f737871, v6
	v_fmac_f32_e32 v34, 0x3f167918, v41
	v_fmac_f32_e32 v6, 0xbf737871, v41
	v_add_f32_e32 v41, v48, v46
	v_add_f32_e32 v53, v35, v37
	v_add_f32_e32 v37, v43, v47
	v_fma_f32 v35, -0.5, v50, v7
	v_sub_f32_e32 v43, v52, v45
	v_fmac_f32_e32 v36, 0x3e9e377a, v42
	v_fmac_f32_e32 v34, 0x3e9e377a, v42
	v_sub_f32_e32 v45, v49, v51
	v_sub_f32_e32 v42, v48, v47
	;; [unrolled: 1-line block ×3, first 2 shown]
	v_fmac_f32_e32 v7, -0.5, v41
	v_fmac_f32_e32 v40, 0xbf167918, v39
	v_fmac_f32_e32 v6, 0x3f167918, v39
	v_add_f32_e32 v39, v37, v44
	v_fmamk_f32 v37, v43, 0x3f737871, v35
	v_add_f32_e32 v49, v42, v49
	v_fmamk_f32 v41, v45, 0xbf737871, v7
	v_sub_f32_e32 v42, v47, v48
	v_sub_f32_e32 v44, v44, v46
	v_fmac_f32_e32 v7, 0x3f737871, v45
	v_fmac_f32_e32 v35, 0xbf737871, v43
	;; [unrolled: 1-line block ×4, first 2 shown]
	v_add_f32_e32 v47, v42, v44
	v_fmac_f32_e32 v7, 0xbf167918, v43
	v_fmac_f32_e32 v35, 0xbf167918, v45
	v_add_f32_e32 v39, v39, v46
	v_fmac_f32_e32 v37, 0x3e9e377a, v49
	v_fmac_f32_e32 v40, 0x3e9e377a, v53
	;; [unrolled: 1-line block ×6, first 2 shown]
	v_mul_f32_e32 v55, v83, v167
	v_add_f32_e32 v44, v8, v54
	v_sub_f32_e32 v48, v80, v76
	v_add_f32_e32 v51, v54, v77
	v_sub_f32_e32 v49, v81, v73
	v_fmac_f32_e32 v55, v82, v166
	v_sub_f32_e32 v50, v77, v58
	v_sub_f32_e32 v47, v58, v77
	v_add_f32_e32 v52, v81, v73
	v_sub_f32_e32 v53, v54, v77
	v_add_f32_e32 v46, v55, v58
	v_add_f32_e32 v45, v44, v55
	v_mul_f32_e32 v69, v71, v173
	v_add_f32_e32 v56, v10, v79
	v_fmac_f32_e32 v32, v60, v180
	v_fma_f32 v42, -0.5, v46, v8
	v_sub_f32_e32 v46, v54, v55
	v_fma_f32 v8, -0.5, v51, v8
	v_add_f32_e32 v51, v9, v80
	v_add_f32_e32 v43, v45, v58
	v_fmamk_f32 v44, v48, 0xbf737871, v42
	v_fmac_f32_e32 v42, 0x3f737871, v48
	v_add_f32_e32 v45, v46, v50
	v_fmamk_f32 v50, v49, 0x3f737871, v8
	v_fmac_f32_e32 v8, 0xbf737871, v49
	v_fmac_f32_e32 v44, 0xbf167918, v49
	v_fmac_f32_e32 v42, 0x3f167918, v49
	v_add_f32_e32 v49, v51, v81
	v_add_f32_e32 v46, v43, v77
	v_sub_f32_e32 v43, v55, v54
	v_fmac_f32_e32 v50, 0xbf167918, v48
	v_fmac_f32_e32 v8, 0x3f167918, v48
	v_add_f32_e32 v48, v49, v73
	v_add_f32_e32 v49, v80, v76
	;; [unrolled: 1-line block ×3, first 2 shown]
	v_fma_f32 v43, -0.5, v52, v9
	v_sub_f32_e32 v54, v55, v58
	v_sub_f32_e32 v51, v80, v81
	;; [unrolled: 1-line block ×3, first 2 shown]
	v_fma_f32 v9, -0.5, v49, v9
	v_fmac_f32_e32 v44, 0x3e9e377a, v45
	v_fmac_f32_e32 v42, 0x3e9e377a, v45
	v_fmamk_f32 v45, v53, 0x3f737871, v43
	v_fmac_f32_e32 v50, 0x3e9e377a, v47
	v_fmac_f32_e32 v8, 0x3e9e377a, v47
	v_add_f32_e32 v47, v48, v76
	v_add_f32_e32 v48, v51, v52
	v_fmamk_f32 v51, v54, 0xbf737871, v9
	v_sub_f32_e32 v49, v81, v80
	v_sub_f32_e32 v52, v73, v76
	v_fmac_f32_e32 v9, 0x3f737871, v54
	v_fmac_f32_e32 v43, 0xbf737871, v53
	;; [unrolled: 1-line block ×4, first 2 shown]
	v_add_f32_e32 v49, v49, v52
	v_fmac_f32_e32 v9, 0xbf167918, v53
	v_fmac_f32_e32 v43, 0xbf167918, v54
	;; [unrolled: 1-line block ×7, first 2 shown]
	v_add_f32_e32 v55, v78, v75
	v_add_f32_e32 v48, v56, v78
	v_sub_f32_e32 v56, v79, v78
	v_sub_f32_e32 v58, v69, v75
	v_add_f32_e32 v59, v79, v69
	v_fma_f32 v52, -0.5, v55, v10
	v_sub_f32_e32 v55, v72, v65
	v_add_f32_e32 v48, v48, v75
	v_sub_f32_e32 v57, v74, v68
	v_add_f32_e32 v60, v56, v58
	v_fma_f32 v10, -0.5, v59, v10
	v_fmamk_f32 v54, v55, 0xbf737871, v52
	v_add_f32_e32 v56, v48, v69
	v_fmac_f32_e32 v52, 0x3f737871, v55
	v_sub_f32_e32 v48, v78, v79
	v_sub_f32_e32 v49, v75, v69
	v_add_f32_e32 v53, v11, v72
	v_add_f32_e32 v59, v74, v68
	v_fmac_f32_e32 v54, 0xbf167918, v57
	v_fmamk_f32 v58, v57, 0x3f737871, v10
	v_fmac_f32_e32 v52, 0x3f167918, v57
	v_add_f32_e32 v48, v48, v49
	v_fmac_f32_e32 v10, 0xbf737871, v57
	v_add_f32_e32 v49, v53, v74
	v_add_f32_e32 v57, v72, v65
	v_fma_f32 v53, -0.5, v59, v11
	v_sub_f32_e32 v62, v79, v69
	v_fmac_f32_e32 v54, 0x3e9e377a, v60
	v_fmac_f32_e32 v58, 0xbf167918, v55
	;; [unrolled: 1-line block ×4, first 2 shown]
	v_add_f32_e32 v49, v49, v68
	v_sub_f32_e32 v60, v78, v75
	v_sub_f32_e32 v59, v72, v74
	;; [unrolled: 1-line block ×3, first 2 shown]
	v_fmac_f32_e32 v11, -0.5, v57
	v_fmamk_f32 v55, v62, 0x3f737871, v53
	v_fmac_f32_e32 v58, 0x3e9e377a, v48
	v_fmac_f32_e32 v10, 0x3e9e377a, v48
	v_add_f32_e32 v57, v49, v65
	v_add_f32_e32 v49, v59, v63
	v_fmamk_f32 v59, v60, 0xbf737871, v11
	v_sub_f32_e32 v48, v74, v72
	v_sub_f32_e32 v63, v68, v65
	v_fmac_f32_e32 v11, 0x3f737871, v60
	v_fmac_f32_e32 v53, 0xbf737871, v62
	;; [unrolled: 1-line block ×4, first 2 shown]
	v_add_f32_e32 v63, v48, v63
	v_fmac_f32_e32 v11, 0xbf167918, v62
	v_fmac_f32_e32 v53, 0xbf167918, v60
	;; [unrolled: 1-line block ×7, first 2 shown]
	v_add_f32_e32 v64, v29, v32
	v_add_f32_e32 v60, v0, v30
	v_sub_f32_e32 v65, v27, v33
	v_sub_f32_e32 v66, v28, v31
	v_sub_f32_e32 v62, v30, v29
	v_fma_f32 v48, -0.5, v64, v0
	v_add_f32_e32 v49, v60, v29
	v_sub_f32_e32 v64, v61, v32
	v_add_f32_e32 v67, v30, v61
	v_sub_f32_e32 v63, v29, v30
	v_fmamk_f32 v60, v65, 0xbf737871, v48
	v_fmac_f32_e32 v48, 0x3f737871, v65
	v_add_f32_e32 v64, v62, v64
	v_fma_f32 v0, -0.5, v67, v0
	v_add_f32_e32 v49, v49, v32
	v_fmac_f32_e32 v60, 0xbf167918, v66
	v_fmac_f32_e32 v48, 0x3f167918, v66
	v_sub_f32_e32 v67, v32, v61
	v_sub_f32_e32 v30, v30, v61
	v_add_f32_e32 v62, v49, v61
	v_fmac_f32_e32 v60, 0x3e9e377a, v64
	v_fmac_f32_e32 v48, 0x3e9e377a, v64
	v_fmamk_f32 v64, v66, 0x3f737871, v0
	v_fmac_f32_e32 v0, 0xbf737871, v66
	v_add_f32_e32 v66, v1, v27
	v_add_f32_e32 v49, v28, v31
	;; [unrolled: 1-line block ×3, first 2 shown]
	v_fmac_f32_e32 v64, 0xbf167918, v65
	v_fmac_f32_e32 v0, 0x3f167918, v65
	v_add_f32_e32 v65, v66, v28
	v_add_f32_e32 v66, v27, v33
	v_fma_f32 v49, -0.5, v49, v1
	v_sub_f32_e32 v29, v29, v32
	v_fmac_f32_e32 v64, 0x3e9e377a, v63
	v_fmac_f32_e32 v0, 0x3e9e377a, v63
	v_fmac_f32_e32 v1, -0.5, v66
	v_fmamk_f32 v61, v30, 0x3f737871, v49
	v_sub_f32_e32 v63, v27, v28
	v_sub_f32_e32 v66, v33, v31
	v_add_f32_e32 v32, v65, v31
	v_fmamk_f32 v65, v29, 0xbf737871, v1
	v_sub_f32_e32 v27, v28, v27
	v_sub_f32_e32 v28, v31, v33
	v_fmac_f32_e32 v1, 0x3f737871, v29
	v_fmac_f32_e32 v49, 0xbf737871, v30
	;; [unrolled: 1-line block ×3, first 2 shown]
	v_add_f32_e32 v31, v63, v66
	v_fmac_f32_e32 v65, 0x3f167918, v30
	v_add_f32_e32 v27, v27, v28
	v_fmac_f32_e32 v1, 0xbf167918, v30
	v_fmac_f32_e32 v49, 0xbf167918, v29
	v_add_f32_e32 v63, v32, v33
	v_fmac_f32_e32 v61, 0x3e9e377a, v31
	v_fmac_f32_e32 v65, 0x3e9e377a, v27
	;; [unrolled: 1-line block ×4, first 2 shown]
	s_waitcnt vmcnt(0)
	ds_write2_b64 v2, v[38:39], v[36:37] offset1:30
	ds_write2_b64 v2, v[40:41], v[6:7] offset0:60 offset1:90
	ds_write_b64 v2, v[34:35] offset:960
	buffer_load_dword v2, off, s[16:19], 0 offset:232 ; 4-byte Folded Reload
	s_waitcnt vmcnt(0)
	ds_write2_b64 v2, v[46:47], v[44:45] offset1:30
	ds_write2_b64 v2, v[50:51], v[8:9] offset0:60 offset1:90
	ds_write_b64 v2, v[42:43] offset:960
	buffer_load_dword v2, off, s[16:19], 0 offset:236 ; 4-byte Folded Reload
	;; [unrolled: 5-line block ×3, first 2 shown]
	s_waitcnt vmcnt(0)
	ds_write2_b64 v2, v[62:63], v[60:61] offset1:30
	ds_write2_b64 v2, v[64:65], v[0:1] offset0:60 offset1:90
	ds_write_b64 v2, v[48:49] offset:960
	v_add_nc_u32_e32 v0, 0x2c00, v236
	s_waitcnt lgkmcnt(0)
	s_barrier
	buffer_gl0_inv
	ds_read2_b64 v[12:15], v236 offset1:90
	ds_read2_b64 v[44:47], v26 offset0:110 offset1:200
	ds_read2_b64 v[40:43], v0 offset0:92 offset1:182
	;; [unrolled: 1-line block ×11, first 2 shown]
	s_and_saveexec_b32 s1, s0
	s_cbranch_execz .LBB0_27
; %bb.26:
	ds_read_b64 v[48:49], v236 offset:5760
	ds_read_b64 v[164:165], v236 offset:11760
	;; [unrolled: 1-line block ×3, first 2 shown]
.LBB0_27:
	s_or_b32 exec_lo, exec_lo, s1
	s_waitcnt lgkmcnt(10)
	v_mul_f32_e32 v50, v97, v45
	v_mul_f32_e32 v51, v97, v44
	s_waitcnt lgkmcnt(9)
	v_mul_f32_e32 v52, v99, v41
	v_mul_f32_e32 v53, v99, v40
	s_waitcnt lgkmcnt(1)
	v_mul_f32_e32 v57, v109, v21
	v_fmac_f32_e32 v50, v96, v44
	v_fma_f32 v44, v96, v45, -v51
	v_mul_f32_e32 v45, v105, v47
	v_mul_f32_e32 v51, v107, v43
	v_fmac_f32_e32 v52, v98, v40
	v_mul_f32_e32 v40, v105, v46
	s_waitcnt lgkmcnt(0)
	v_mul_f32_e32 v59, v111, v17
	v_fmac_f32_e32 v45, v104, v46
	v_mul_f32_e32 v46, v107, v42
	v_fmac_f32_e32 v51, v106, v42
	v_mul_f32_e32 v42, v93, v36
	v_fma_f32 v40, v104, v47, -v40
	v_mul_f32_e32 v47, v93, v37
	v_fma_f32 v43, v106, v43, -v46
	;; [unrolled: 2-line block ×3, first 2 shown]
	v_mul_f32_e32 v42, v89, v39
	v_fmac_f32_e32 v47, v92, v36
	v_mul_f32_e32 v36, v95, v32
	v_fmac_f32_e32 v46, v94, v32
	v_mul_f32_e32 v32, v89, v38
	v_fmac_f32_e32 v42, v88, v38
	v_mul_f32_e32 v38, v91, v34
	v_fma_f32 v33, v94, v33, -v36
	v_mul_f32_e32 v36, v91, v35
	v_fma_f32 v32, v88, v39, -v32
	;; [unrolled: 2-line block ×3, first 2 shown]
	v_mul_f32_e32 v38, v119, v25
	v_fmac_f32_e32 v36, v90, v34
	v_mul_f32_e32 v34, v117, v28
	v_fmac_f32_e32 v39, v116, v28
	;; [unrolled: 2-line block ×4, first 2 shown]
	v_fma_f32 v41, v98, v41, -v53
	v_fmac_f32_e32 v59, v110, v16
	v_mul_f32_e32 v61, v101, v23
	v_fma_f32 v56, v112, v31, -v24
	v_mul_f32_e32 v24, v109, v20
	v_mul_f32_e32 v20, v111, v16
	v_mul_f32_e32 v16, v101, v22
	v_mul_f32_e32 v62, v103, v19
	v_fmac_f32_e32 v61, v100, v22
	v_fma_f32 v60, v108, v21, -v24
	v_fma_f32 v20, v110, v17, -v20
	v_mul_f32_e32 v17, v103, v18
	v_fma_f32 v63, v100, v23, -v16
	v_add_f32_e32 v16, v50, v52
	v_fmac_f32_e32 v62, v102, v18
	v_add_f32_e32 v18, v12, v50
	v_fma_f32 v64, v102, v19, -v17
	v_add_f32_e32 v17, v44, v41
	v_fma_f32 v12, -0.5, v16, v12
	v_sub_f32_e32 v19, v44, v41
	v_add_f32_e32 v21, v13, v44
	v_sub_f32_e32 v22, v50, v52
	v_fma_f32 v13, -0.5, v17, v13
	v_add_f32_e32 v16, v18, v52
	v_fmamk_f32 v18, v19, 0xbf5db3d7, v12
	v_fmac_f32_e32 v12, 0x3f5db3d7, v19
	v_add_f32_e32 v17, v21, v41
	v_fmamk_f32 v19, v22, 0x3f5db3d7, v13
	v_fmac_f32_e32 v13, 0xbf5db3d7, v22
	s_barrier
	buffer_gl0_inv
	ds_write2_b64 v236, v[16:17], v[18:19] offset1:150
	ds_write_b64 v236, v[12:13] offset:2400
	buffer_load_dword v12, off, s[16:19], 0 offset:248 ; 4-byte Folded Reload
	v_fma_f32 v54, v118, v25, -v28
	v_mul_f32_e32 v55, v115, v27
	v_mul_f32_e32 v25, v115, v26
	v_add_f32_e32 v21, v45, v51
	v_add_f32_e32 v22, v40, v43
	;; [unrolled: 1-line block ×3, first 2 shown]
	v_fmac_f32_e32 v55, v114, v26
	v_fma_f32 v58, v114, v27, -v25
	v_fma_f32 v14, -0.5, v21, v14
	v_sub_f32_e32 v24, v40, v43
	v_add_f32_e32 v25, v15, v40
	v_fmac_f32_e32 v15, -0.5, v22
	v_sub_f32_e32 v26, v45, v51
	v_mul_f32_e32 v53, v113, v31
	v_add_f32_e32 v21, v23, v51
	v_fmamk_f32 v23, v24, 0xbf5db3d7, v14
	v_fmac_f32_e32 v14, 0x3f5db3d7, v24
	v_add_f32_e32 v22, v25, v43
	v_add_f32_e32 v25, v47, v46
	v_fmamk_f32 v24, v26, 0x3f5db3d7, v15
	v_fmac_f32_e32 v15, 0xbf5db3d7, v26
	v_add_f32_e32 v26, v37, v33
	v_fma_f32 v34, v116, v29, -v34
	v_fmac_f32_e32 v53, v112, v30
	v_add_f32_e32 v27, v8, v47
	v_fma_f32 v8, -0.5, v25, v8
	v_sub_f32_e32 v28, v37, v33
	v_add_f32_e32 v29, v9, v37
	v_fma_f32 v9, -0.5, v26, v9
	v_sub_f32_e32 v30, v47, v46
	v_add_f32_e32 v25, v27, v46
	v_fmamk_f32 v27, v28, 0xbf5db3d7, v8
	v_fmac_f32_e32 v8, 0x3f5db3d7, v28
	v_add_f32_e32 v26, v29, v33
	v_add_f32_e32 v29, v42, v36
	v_fmamk_f32 v28, v30, 0x3f5db3d7, v9
	v_add_f32_e32 v31, v10, v42
	v_fmac_f32_e32 v9, 0xbf5db3d7, v30
	v_add_f32_e32 v30, v32, v35
	v_fma_f32 v10, -0.5, v29, v10
	v_sub_f32_e32 v33, v32, v35
	v_add_f32_e32 v29, v31, v36
	v_add_f32_e32 v32, v11, v32
	v_fmac_f32_e32 v11, -0.5, v30
	v_sub_f32_e32 v36, v42, v36
	v_fmamk_f32 v31, v33, 0xbf5db3d7, v10
	v_fmac_f32_e32 v10, 0x3f5db3d7, v33
	v_add_f32_e32 v30, v32, v35
	v_add_f32_e32 v33, v39, v38
	v_fmamk_f32 v32, v36, 0x3f5db3d7, v11
	v_add_f32_e32 v35, v0, v39
	v_fmac_f32_e32 v11, 0xbf5db3d7, v36
	v_add_f32_e32 v36, v34, v54
	v_fma_f32 v0, -0.5, v33, v0
	v_sub_f32_e32 v37, v34, v54
	v_add_f32_e32 v33, v35, v38
	v_add_f32_e32 v34, v1, v34
	v_fma_f32 v1, -0.5, v36, v1
	v_sub_f32_e32 v38, v39, v38
	v_fmamk_f32 v35, v37, 0xbf5db3d7, v0
	v_fmac_f32_e32 v0, 0x3f5db3d7, v37
	v_add_f32_e32 v37, v53, v55
	v_add_f32_e32 v39, v2, v53
	v_fmamk_f32 v36, v38, 0x3f5db3d7, v1
	v_fmac_f32_e32 v1, 0xbf5db3d7, v38
	v_add_f32_e32 v38, v56, v58
	v_fma_f32 v2, -0.5, v37, v2
	v_sub_f32_e32 v40, v56, v58
	v_add_f32_e32 v41, v3, v56
	v_sub_f32_e32 v42, v53, v55
	v_fmac_f32_e32 v3, -0.5, v38
	v_add_f32_e32 v37, v39, v55
	v_fmamk_f32 v39, v40, 0xbf5db3d7, v2
	v_fmac_f32_e32 v2, 0x3f5db3d7, v40
	v_add_f32_e32 v38, v41, v58
	v_add_f32_e32 v41, v57, v59
	v_fmamk_f32 v40, v42, 0x3f5db3d7, v3
	v_fmac_f32_e32 v3, 0xbf5db3d7, v42
	v_add_f32_e32 v42, v60, v20
	v_add_f32_e32 v45, v5, v60
	v_add_f32_e32 v43, v4, v57
	v_fma_f32 v4, -0.5, v41, v4
	v_sub_f32_e32 v44, v60, v20
	v_fma_f32 v5, -0.5, v42, v5
	v_sub_f32_e32 v46, v57, v59
	v_add_f32_e32 v42, v45, v20
	v_add_f32_e32 v20, v61, v62
	;; [unrolled: 1-line block ×3, first 2 shown]
	v_fmamk_f32 v43, v44, 0xbf5db3d7, v4
	v_fmac_f32_e32 v4, 0x3f5db3d7, v44
	v_fmamk_f32 v44, v46, 0x3f5db3d7, v5
	v_fmac_f32_e32 v5, 0xbf5db3d7, v46
	v_add_f32_e32 v46, v6, v61
	v_fma_f32 v6, -0.5, v20, v6
	v_sub_f32_e32 v20, v63, v64
	v_add_f32_e32 v34, v34, v54
	v_add_f32_e32 v45, v63, v64
	;; [unrolled: 1-line block ×3, first 2 shown]
	v_sub_f32_e32 v52, v61, v62
	v_fmamk_f32 v50, v20, 0xbf5db3d7, v6
	v_fmac_f32_e32 v6, 0x3f5db3d7, v20
	v_add_nc_u32_e32 v20, 0xc00, v236
	v_fmac_f32_e32 v7, -0.5, v45
	v_add_f32_e32 v45, v46, v62
	v_add_f32_e32 v46, v47, v64
	s_waitcnt vmcnt(0)
	ds_write2_b64 v12, v[21:22], v[23:24] offset1:150
	ds_write_b64 v12, v[14:15] offset:2400
	ds_write2_b64 v20, v[25:26], v[27:28] offset0:96 offset1:246
	s_clause 0x1
	buffer_load_dword v13, off, s[16:19], 0 offset:256
	buffer_load_dword v14, off, s[16:19], 0 offset:260
	ds_write_b64 v236, v[8:9] offset:6240
	buffer_load_dword v9, off, s[16:19], 0 offset:252 ; 4-byte Folded Reload
	v_fmamk_f32 v51, v52, 0x3f5db3d7, v7
	v_fmac_f32_e32 v7, 0xbf5db3d7, v52
	s_waitcnt vmcnt(2)
	v_add_nc_u32_e32 v12, 0x1c00, v13
	s_waitcnt vmcnt(1)
	v_add_nc_u32_e32 v8, 0x2800, v14
	s_waitcnt vmcnt(0)
	ds_write2_b64 v9, v[29:30], v[31:32] offset1:150
	ds_write_b64 v9, v[10:11] offset:2400
	ds_write2_b64 v12, v[33:34], v[35:36] offset0:4 offset1:154
	ds_write_b64 v13, v[0:1] offset:9600
	buffer_load_dword v9, off, s[16:19], 0 offset:268 ; 4-byte Folded Reload
	ds_write2_b64 v8, v[37:38], v[39:40] offset0:70 offset1:220
	ds_write_b64 v14, v[2:3] offset:13200
	buffer_load_dword v1, off, s[16:19], 0 offset:264 ; 4-byte Folded Reload
	s_waitcnt vmcnt(1)
	v_add_nc_u32_e32 v0, 0x3800, v9
	s_waitcnt vmcnt(0)
	ds_write2_b64 v1, v[41:42], v[43:44] offset1:150
	ds_write_b64 v1, v[4:5] offset:2400
	ds_write2_b64 v0, v[45:46], v[50:51] offset0:8 offset1:158
	ds_write_b64 v9, v[6:7] offset:16800
	s_and_saveexec_b32 s1, s0
	s_cbranch_execz .LBB0_29
; %bb.28:
	buffer_load_dword v5, off, s[16:19], 0 offset:244 ; 4-byte Folded Reload
	v_mul_f32_e32 v0, v85, v164
	v_mul_f32_e32 v1, v87, v160
	;; [unrolled: 1-line block ×4, first 2 shown]
	v_fma_f32 v0, v84, v165, -v0
	v_fma_f32 v3, v86, v161, -v1
	v_fmac_f32_e32 v2, v84, v164
	v_mov_b32_e32 v1, 3
	v_fmac_f32_e32 v6, v86, v160
	v_add_f32_e32 v9, v49, v0
	v_add_f32_e32 v4, v0, v3
	v_sub_f32_e32 v10, v0, v3
	v_sub_f32_e32 v8, v2, v6
	v_add_f32_e32 v3, v9, v3
	s_waitcnt vmcnt(0)
	v_lshlrev_b32_sdwa v7, v1, v5 dst_sel:DWORD dst_unused:UNUSED_PAD src0_sel:DWORD src1_sel:WORD_0
	v_add_f32_e32 v5, v2, v6
	v_fma_f32 v1, -0.5, v4, v49
	v_add_f32_e32 v2, v48, v2
	v_fma_f32 v0, -0.5, v5, v48
	v_fmamk_f32 v5, v8, 0xbf5db3d7, v1
	v_fmac_f32_e32 v1, 0x3f5db3d7, v8
	v_add_f32_e32 v2, v2, v6
	v_add_nc_u32_e32 v6, 0x3800, v7
	v_fmamk_f32 v4, v10, 0x3f5db3d7, v0
	v_fmac_f32_e32 v0, 0xbf5db3d7, v10
	ds_write2_b64 v6, v[2:3], v[0:1] offset0:8 offset1:158
	ds_write_b64 v7, v[4:5] offset:16800
.LBB0_29:
	s_or_b32 exec_lo, exec_lo, s1
	v_add_nc_u32_e32 v0, 0x800, v236
	v_add_nc_u32_e32 v24, 0x1800, v236
	s_waitcnt lgkmcnt(0)
	s_barrier
	buffer_gl0_inv
	ds_read2_b64 v[0:3], v0 offset0:104 offset1:194
	ds_read2_b64 v[4:7], v236 offset1:90
	v_add_nc_u32_e32 v8, 0x2400, v236
	v_add_nc_u32_e32 v19, 0x3800, v236
	ds_read2_b64 v[12:15], v24 offset0:132 offset1:222
	v_add_nc_u32_e32 v25, 0x1000, v236
	v_add_nc_u32_e32 v22, 0x2800, v236
	;; [unrolled: 1-line block ×3, first 2 shown]
	ds_read2_b64 v[32:35], v8 offset0:108 offset1:198
	v_add_nc_u32_e32 v23, 0x2000, v236
	v_add_nc_u32_e32 v18, 0x3c00, v236
	ds_read_b64 v[16:17], v236 offset:17280
	ds_read2_b64 v[28:31], v19 offset0:8 offset1:98
	ds_read2_b64 v[36:39], v25 offset0:28 offset1:118
	;; [unrolled: 1-line block ×6, first 2 shown]
	v_add_nc_u32_e32 v27, 0x1400, v236
	v_add_nc_u32_e32 v21, 0x3000, v236
	ds_read2_b64 v[52:55], v27 offset0:80 offset1:170
	ds_read2_b64 v[56:59], v21 offset0:84 offset1:174
	s_mov_b32 s2, 0x5a912e32
	s_mov_b32 s3, 0x3f3d208a
	s_waitcnt lgkmcnt(12)
	v_mul_f32_e32 v60, v125, v3
	v_mul_f32_e32 v61, v125, v2
	s_mul_hi_u32 s1, s8, 0xe1
	s_mul_i32 s4, s8, 0xe1
	s_waitcnt lgkmcnt(10)
	v_mul_f32_e32 v62, v127, v13
	v_fmac_f32_e32 v60, v124, v2
	v_mul_f32_e32 v2, v127, v12
	v_fma_f32 v61, v124, v3, -v61
	s_waitcnt lgkmcnt(6)
	v_mul_f32_e32 v3, v133, v36
	v_fmac_f32_e32 v62, v126, v12
	v_mul_f32_e32 v12, v139, v30
	v_fma_f32 v65, v126, v13, -v2
	v_mul_f32_e32 v2, v123, v28
	v_fma_f32 v68, v132, v37, -v3
	s_waitcnt lgkmcnt(5)
	v_mul_f32_e32 v3, v137, v40
	v_fma_f32 v73, v138, v31, -v12
	s_waitcnt lgkmcnt(1)
	v_mul_f32_e32 v12, v145, v52
	v_fma_f32 v67, v122, v29, -v2
	v_mul_f32_e32 v2, v135, v14
	v_fma_f32 v72, v136, v41, -v3
	v_mul_f32_e32 v3, v131, v44
	v_mul_f32_e32 v63, v121, v35
	;; [unrolled: 1-line block ×3, first 2 shown]
	v_fma_f32 v71, v134, v15, -v2
	v_mul_f32_e32 v2, v129, v38
	v_fma_f32 v78, v130, v45, -v3
	v_mul_f32_e32 v3, v143, v48
	v_mul_f32_e32 v70, v139, v31
	v_fma_f32 v83, v144, v53, -v12
	v_fma_f32 v77, v128, v39, -v2
	v_mul_f32_e32 v2, v141, v42
	v_fma_f32 v82, v142, v49, -v3
	s_waitcnt lgkmcnt(0)
	v_mul_f32_e32 v3, v149, v56
	v_mul_f32_e32 v12, v159, v32
	v_fmac_f32_e32 v63, v120, v34
	v_fma_f32 v81, v140, v43, -v2
	v_mul_f32_e32 v2, v147, v46
	v_fma_f32 v88, v148, v57, -v3
	v_mul_f32_e32 v3, v157, v54
	v_fmac_f32_e32 v13, v122, v28
	v_fmac_f32_e32 v70, v138, v30
	v_fma_f32 v87, v146, v47, -v2
	v_mul_f32_e32 v2, v151, v50
	v_mul_f32_e32 v30, v159, v33
	v_fma_f32 v28, v156, v55, -v3
	v_fma_f32 v29, v158, v33, -v12
	v_mul_f32_e32 v3, v153, v58
	v_add_f32_e32 v12, v4, v60
	v_mul_f32_e32 v64, v121, v34
	v_mul_f32_e32 v66, v135, v15
	v_fma_f32 v89, v150, v51, -v2
	v_fmac_f32_e32 v30, v158, v32
	v_add_f32_e32 v2, v62, v63
	v_mul_f32_e32 v90, v155, v17
	v_fma_f32 v32, v152, v59, -v3
	v_add_f32_e32 v3, v12, v62
	v_fma_f32 v35, v120, v35, -v64
	v_mul_f32_e32 v64, v133, v37
	v_fmac_f32_e32 v66, v134, v14
	v_mul_f32_e32 v74, v129, v39
	v_fma_f32 v2, -0.5, v2, v4
	v_sub_f32_e32 v15, v61, v67
	v_fmac_f32_e32 v90, v154, v16
	v_sub_f32_e32 v14, v60, v62
	v_sub_f32_e32 v34, v13, v63
	v_add_f32_e32 v37, v60, v13
	v_mul_f32_e32 v16, v155, v16
	v_add_f32_e32 v3, v3, v63
	v_fmac_f32_e32 v64, v132, v36
	v_fmac_f32_e32 v74, v128, v38
	v_fmamk_f32 v12, v15, 0xbf737871, v2
	v_sub_f32_e32 v36, v65, v35
	v_add_f32_e32 v38, v14, v34
	v_fma_f32 v14, -0.5, v37, v4
	v_fma_f32 v34, v154, v17, -v16
	v_add_f32_e32 v4, v3, v13
	v_fmac_f32_e32 v2, 0x3f737871, v15
	v_sub_f32_e32 v3, v62, v60
	v_sub_f32_e32 v17, v63, v13
	v_add_f32_e32 v37, v5, v61
	v_add_f32_e32 v39, v65, v35
	v_mul_f32_e32 v69, v137, v41
	v_fmac_f32_e32 v12, 0xbf167918, v36
	v_fmamk_f32 v16, v36, 0x3f737871, v14
	v_fmac_f32_e32 v2, 0x3f167918, v36
	v_add_f32_e32 v17, v3, v17
	v_fmac_f32_e32 v14, 0xbf737871, v36
	v_add_f32_e32 v36, v37, v65
	v_fma_f32 v3, -0.5, v39, v5
	v_sub_f32_e32 v39, v60, v13
	v_fmac_f32_e32 v69, v136, v40
	v_fmac_f32_e32 v12, 0x3e9e377a, v38
	;; [unrolled: 1-line block ×5, first 2 shown]
	v_add_f32_e32 v36, v36, v35
	v_fmamk_f32 v13, v39, 0x3f737871, v3
	v_add_f32_e32 v15, v61, v67
	v_sub_f32_e32 v37, v62, v63
	v_sub_f32_e32 v38, v61, v65
	;; [unrolled: 1-line block ×3, first 2 shown]
	v_fmac_f32_e32 v3, 0xbf737871, v39
	v_fma_f32 v15, -0.5, v15, v5
	v_add_f32_e32 v5, v36, v67
	v_fmac_f32_e32 v13, 0x3f167918, v37
	v_add_f32_e32 v36, v38, v40
	v_fmac_f32_e32 v3, 0xbf167918, v37
	v_add_f32_e32 v41, v6, v64
	v_mul_f32_e32 v75, v131, v45
	v_fmac_f32_e32 v16, 0x3e9e377a, v17
	v_fmac_f32_e32 v14, 0x3e9e377a, v17
	v_fmamk_f32 v17, v37, 0xbf737871, v15
	v_sub_f32_e32 v38, v65, v61
	v_sub_f32_e32 v35, v35, v67
	v_fmac_f32_e32 v13, 0x3e9e377a, v36
	v_add_f32_e32 v40, v66, v69
	v_fmac_f32_e32 v3, 0x3e9e377a, v36
	v_fmac_f32_e32 v15, 0x3f737871, v37
	v_add_f32_e32 v36, v41, v66
	v_mul_f32_e32 v76, v141, v43
	v_fmac_f32_e32 v75, v130, v44
	v_fmac_f32_e32 v17, 0x3f167918, v39
	v_add_f32_e32 v38, v38, v35
	v_fma_f32 v35, -0.5, v40, v6
	v_sub_f32_e32 v40, v68, v73
	v_add_f32_e32 v44, v64, v70
	v_fmac_f32_e32 v15, 0xbf167918, v39
	v_add_f32_e32 v36, v36, v69
	v_fmac_f32_e32 v76, v140, v42
	v_mul_f32_e32 v84, v147, v47
	v_fmac_f32_e32 v17, 0x3e9e377a, v38
	v_fmamk_f32 v37, v40, 0xbf737871, v35
	v_sub_f32_e32 v42, v71, v72
	v_sub_f32_e32 v41, v64, v66
	;; [unrolled: 1-line block ×3, first 2 shown]
	v_fma_f32 v6, -0.5, v44, v6
	v_fmac_f32_e32 v15, 0x3e9e377a, v38
	v_add_f32_e32 v39, v36, v70
	v_fmac_f32_e32 v35, 0x3f737871, v40
	v_sub_f32_e32 v36, v66, v64
	v_sub_f32_e32 v38, v69, v70
	v_add_f32_e32 v44, v7, v68
	v_add_f32_e32 v45, v71, v72
	v_fmac_f32_e32 v84, v146, v46
	v_fmac_f32_e32 v37, 0xbf167918, v42
	v_add_f32_e32 v43, v41, v43
	v_fmamk_f32 v41, v42, 0x3f737871, v6
	v_fmac_f32_e32 v35, 0x3f167918, v42
	v_add_f32_e32 v46, v36, v38
	v_fmac_f32_e32 v6, 0xbf737871, v42
	v_add_f32_e32 v38, v44, v71
	v_fma_f32 v36, -0.5, v45, v7
	v_sub_f32_e32 v44, v64, v70
	v_fmac_f32_e32 v37, 0x3e9e377a, v43
	v_fmac_f32_e32 v41, 0xbf167918, v40
	;; [unrolled: 1-line block ×4, first 2 shown]
	v_add_f32_e32 v40, v38, v72
	v_fmamk_f32 v38, v44, 0x3f737871, v36
	v_add_f32_e32 v42, v68, v73
	v_sub_f32_e32 v45, v66, v69
	v_sub_f32_e32 v43, v68, v71
	;; [unrolled: 1-line block ×3, first 2 shown]
	v_fmac_f32_e32 v36, 0xbf737871, v44
	v_mul_f32_e32 v79, v143, v49
	v_fmac_f32_e32 v41, 0x3e9e377a, v46
	v_fmac_f32_e32 v6, 0x3e9e377a, v46
	v_fmac_f32_e32 v7, -0.5, v42
	v_fmac_f32_e32 v38, 0x3f167918, v45
	v_add_f32_e32 v46, v43, v47
	v_fmac_f32_e32 v36, 0xbf167918, v45
	v_add_f32_e32 v49, v8, v74
	v_mul_f32_e32 v80, v145, v53
	v_fmac_f32_e32 v79, v142, v48
	v_fmamk_f32 v42, v45, 0xbf737871, v7
	v_sub_f32_e32 v43, v71, v68
	v_sub_f32_e32 v47, v72, v73
	v_fmac_f32_e32 v38, 0x3e9e377a, v46
	v_add_f32_e32 v48, v75, v76
	v_fmac_f32_e32 v36, 0x3e9e377a, v46
	v_fmac_f32_e32 v7, 0x3f737871, v45
	v_add_f32_e32 v46, v49, v75
	v_fmac_f32_e32 v80, v144, v52
	v_mul_f32_e32 v86, v151, v51
	v_fmac_f32_e32 v42, 0x3f167918, v44
	v_add_f32_e32 v47, v43, v47
	v_fma_f32 v43, -0.5, v48, v8
	v_sub_f32_e32 v48, v77, v82
	v_sub_f32_e32 v49, v74, v75
	;; [unrolled: 1-line block ×3, first 2 shown]
	v_add_f32_e32 v52, v74, v79
	v_fmac_f32_e32 v7, 0xbf167918, v44
	v_add_f32_e32 v44, v46, v76
	v_fmac_f32_e32 v86, v150, v50
	v_fmac_f32_e32 v42, 0x3e9e377a, v47
	v_fmamk_f32 v45, v48, 0xbf737871, v43
	v_sub_f32_e32 v50, v78, v81
	v_add_f32_e32 v46, v49, v51
	v_fma_f32 v8, -0.5, v52, v8
	v_fmac_f32_e32 v7, 0x3e9e377a, v47
	v_add_f32_e32 v47, v44, v79
	v_fmac_f32_e32 v43, 0x3f737871, v48
	v_sub_f32_e32 v44, v75, v74
	v_sub_f32_e32 v51, v76, v79
	v_add_f32_e32 v52, v9, v77
	v_add_f32_e32 v53, v78, v81
	v_mul_f32_e32 v85, v149, v57
	v_mul_f32_e32 v31, v157, v55
	v_fmac_f32_e32 v45, 0xbf167918, v50
	v_fmamk_f32 v49, v50, 0x3f737871, v8
	v_fmac_f32_e32 v43, 0x3f167918, v50
	v_add_f32_e32 v51, v44, v51
	v_fmac_f32_e32 v8, 0xbf737871, v50
	v_add_f32_e32 v50, v52, v78
	v_fma_f32 v44, -0.5, v53, v9
	v_sub_f32_e32 v52, v74, v79
	v_fmac_f32_e32 v85, v148, v56
	v_fmac_f32_e32 v31, v156, v54
	;; [unrolled: 1-line block ×6, first 2 shown]
	v_add_f32_e32 v48, v50, v81
	v_fmamk_f32 v46, v52, 0x3f737871, v44
	v_add_f32_e32 v50, v77, v82
	v_sub_f32_e32 v53, v75, v76
	v_sub_f32_e32 v54, v77, v78
	;; [unrolled: 1-line block ×3, first 2 shown]
	v_fmac_f32_e32 v44, 0xbf737871, v52
	v_fmac_f32_e32 v49, 0x3e9e377a, v51
	;; [unrolled: 1-line block ×3, first 2 shown]
	v_fma_f32 v9, -0.5, v50, v9
	v_fmac_f32_e32 v46, 0x3f167918, v53
	v_add_f32_e32 v54, v54, v55
	v_sub_f32_e32 v51, v78, v77
	v_sub_f32_e32 v55, v81, v82
	v_add_f32_e32 v56, v84, v85
	v_fmac_f32_e32 v44, 0xbf167918, v53
	v_add_f32_e32 v57, v10, v80
	v_mul_f32_e32 v33, v153, v59
	v_fmamk_f32 v50, v53, 0xbf737871, v9
	v_fmac_f32_e32 v46, 0x3e9e377a, v54
	v_add_f32_e32 v55, v51, v55
	v_fma_f32 v51, -0.5, v56, v10
	v_sub_f32_e32 v56, v83, v89
	v_fmac_f32_e32 v44, 0x3e9e377a, v54
	v_fmac_f32_e32 v9, 0x3f737871, v53
	v_add_f32_e32 v54, v57, v84
	v_add_f32_e32 v60, v80, v86
	v_fmac_f32_e32 v33, v152, v58
	v_fmac_f32_e32 v50, 0x3f167918, v52
	v_fmamk_f32 v53, v56, 0xbf737871, v51
	v_sub_f32_e32 v58, v87, v88
	v_sub_f32_e32 v57, v80, v84
	;; [unrolled: 1-line block ×3, first 2 shown]
	v_fmac_f32_e32 v9, 0xbf167918, v52
	v_add_f32_e32 v52, v54, v85
	v_fma_f32 v10, -0.5, v60, v10
	v_fmac_f32_e32 v51, 0x3f737871, v56
	v_add_f32_e32 v60, v11, v83
	v_fmac_f32_e32 v50, 0x3e9e377a, v55
	v_fmac_f32_e32 v53, 0xbf167918, v58
	v_add_f32_e32 v54, v57, v59
	v_fmac_f32_e32 v9, 0x3e9e377a, v55
	v_add_f32_e32 v55, v52, v86
	v_fmamk_f32 v57, v58, 0x3f737871, v10
	v_sub_f32_e32 v52, v84, v80
	v_sub_f32_e32 v59, v85, v86
	v_fmac_f32_e32 v51, 0x3f167918, v58
	v_add_f32_e32 v61, v87, v88
	v_fmac_f32_e32 v10, 0xbf737871, v58
	v_add_f32_e32 v58, v60, v87
	;; [unrolled: 2-line block ×3, first 2 shown]
	v_fma_f32 v52, -0.5, v61, v11
	v_sub_f32_e32 v60, v80, v86
	v_fmac_f32_e32 v10, 0x3f167918, v56
	v_add_f32_e32 v56, v58, v88
	v_add_f32_e32 v58, v83, v89
	v_sub_f32_e32 v62, v83, v87
	v_sub_f32_e32 v63, v89, v88
	v_fmac_f32_e32 v53, 0x3e9e377a, v54
	v_fmac_f32_e32 v51, 0x3e9e377a, v54
	;; [unrolled: 1-line block ×3, first 2 shown]
	v_fmamk_f32 v54, v60, 0x3f737871, v52
	v_sub_f32_e32 v61, v84, v85
	v_fmac_f32_e32 v10, 0x3e9e377a, v59
	v_fmac_f32_e32 v11, -0.5, v58
	v_add_f32_e32 v62, v62, v63
	v_fmac_f32_e32 v52, 0xbf737871, v60
	v_sub_f32_e32 v59, v87, v83
	v_sub_f32_e32 v63, v88, v89
	v_add_f32_e32 v64, v30, v33
	v_fmac_f32_e32 v54, 0x3f167918, v61
	v_fmamk_f32 v58, v61, 0xbf737871, v11
	v_fmac_f32_e32 v52, 0xbf167918, v61
	v_add_f32_e32 v63, v59, v63
	v_fmac_f32_e32 v11, 0x3f737871, v61
	v_add_f32_e32 v61, v0, v31
	v_fma_f32 v59, -0.5, v64, v0
	v_sub_f32_e32 v64, v28, v34
	v_fmac_f32_e32 v54, 0x3e9e377a, v62
	v_fmac_f32_e32 v58, 0x3f167918, v60
	;; [unrolled: 1-line block ×4, first 2 shown]
	v_add_f32_e32 v60, v61, v30
	v_fmamk_f32 v61, v64, 0xbf737871, v59
	v_sub_f32_e32 v62, v29, v32
	v_sub_f32_e32 v65, v31, v30
	v_sub_f32_e32 v66, v90, v33
	v_fmac_f32_e32 v59, 0x3f737871, v64
	v_add_f32_e32 v67, v31, v90
	v_add_f32_e32 v60, v60, v33
	v_fmac_f32_e32 v61, 0xbf167918, v62
	v_add_f32_e32 v65, v65, v66
	v_fmac_f32_e32 v59, 0x3f167918, v62
	v_fma_f32 v0, -0.5, v67, v0
	v_sub_f32_e32 v66, v30, v31
	v_sub_f32_e32 v67, v33, v90
	v_fmac_f32_e32 v58, 0x3e9e377a, v63
	v_fmac_f32_e32 v11, 0x3e9e377a, v63
	v_add_f32_e32 v63, v60, v90
	v_fmac_f32_e32 v61, 0x3e9e377a, v65
	v_fmac_f32_e32 v59, 0x3e9e377a, v65
	v_fmamk_f32 v65, v62, 0x3f737871, v0
	v_add_f32_e32 v60, v29, v32
	v_fmac_f32_e32 v0, 0xbf737871, v62
	v_add_f32_e32 v62, v1, v28
	v_add_f32_e32 v66, v66, v67
	;; [unrolled: 1-line block ×3, first 2 shown]
	v_fma_f32 v60, -0.5, v60, v1
	v_fmac_f32_e32 v65, 0xbf167918, v64
	v_fmac_f32_e32 v0, 0x3f167918, v64
	v_add_f32_e32 v64, v62, v29
	v_sub_f32_e32 v30, v30, v33
	v_fmac_f32_e32 v1, -0.5, v67
	v_sub_f32_e32 v31, v31, v90
	v_fmac_f32_e32 v65, 0x3e9e377a, v66
	v_fmac_f32_e32 v0, 0x3e9e377a, v66
	v_add_f32_e32 v33, v64, v32
	v_sub_f32_e32 v64, v28, v29
	v_fmamk_f32 v66, v30, 0xbf737871, v1
	v_sub_f32_e32 v28, v29, v28
	v_sub_f32_e32 v29, v32, v34
	v_fmac_f32_e32 v1, 0x3f737871, v30
	v_fmamk_f32 v62, v31, 0x3f737871, v60
	v_sub_f32_e32 v67, v34, v32
	v_fmac_f32_e32 v60, 0xbf737871, v31
	v_add_f32_e32 v28, v28, v29
	v_fmac_f32_e32 v1, 0xbf167918, v31
	v_fmac_f32_e32 v62, 0x3f167918, v30
	v_add_f32_e32 v32, v64, v67
	v_fmac_f32_e32 v60, 0xbf167918, v30
	v_fmac_f32_e32 v66, 0x3f167918, v31
	v_add_f32_e32 v48, v48, v82
	v_add_f32_e32 v56, v56, v89
	;; [unrolled: 1-line block ×3, first 2 shown]
	v_fmac_f32_e32 v1, 0x3e9e377a, v28
	ds_write_b64 v236, v[12:13] offset:3600
	ds_write_b64 v236, v[16:17] offset:7200
	;; [unrolled: 1-line block ×4, first 2 shown]
	ds_write2_b64 v236, v[4:5], v[39:40] offset1:90
	ds_write_b64 v236, v[41:42] offset:7920
	ds_write_b64 v236, v[6:7] offset:11520
	v_add_nc_u32_e32 v2, 0x2c00, v236
	v_add_f32_e32 v64, v33, v34
	v_fmac_f32_e32 v62, 0x3e9e377a, v32
	v_fmac_f32_e32 v60, 0x3e9e377a, v32
	;; [unrolled: 1-line block ×3, first 2 shown]
	ds_write_b64 v236, v[35:36] offset:15120
	ds_write2_b64 v25, v[37:38], v[45:46] offset0:28 offset1:118
	ds_write2_b64 v26, v[47:48], v[55:56] offset0:52 offset1:142
	;; [unrolled: 1-line block ×5, first 2 shown]
	ds_write_b64 v236, v[63:64] offset:2880
	ds_write2_b64 v27, v[53:54], v[61:62] offset0:80 offset1:170
	ds_write_b64 v236, v[65:66] offset:10080
	ds_write_b64 v236, v[0:1] offset:13680
	;; [unrolled: 1-line block ×3, first 2 shown]
	s_waitcnt lgkmcnt(0)
	s_barrier
	buffer_gl0_inv
	ds_read2_b64 v[0:3], v236 offset1:90
	v_mad_u64_u32 v[32:33], null, s8, v237, 0
	s_waitcnt lgkmcnt(0)
	v_mul_f32_e32 v4, v253, v0
	v_mul_f32_e32 v8, v253, v1
	v_fma_f32 v9, v252, v1, -v4
	ds_read2_b64 v[4:7], v26 offset0:97 offset1:187
	s_clause 0x1
	buffer_load_dword v10, off, s[16:19], 0 offset:160
	buffer_load_dword v11, off, s[16:19], 0 offset:164
	v_fmac_f32_e32 v8, v252, v0
	v_cvt_f64_f32_e32 v[0:1], v8
	v_cvt_f64_f32_e32 v[8:9], v9
	s_waitcnt lgkmcnt(0)
	v_mul_f32_e32 v12, v251, v5
	v_mul_f32_e32 v13, v251, v4
	v_fmac_f32_e32 v12, v250, v4
	v_fma_f32 v5, v250, v5, -v13
	v_mul_f64 v[0:1], v[0:1], s[2:3]
	v_mul_f64 v[28:29], v[8:9], s[2:3]
	v_cvt_f64_f32_e32 v[30:31], v12
	v_cvt_f64_f32_e32 v[34:35], v5
	v_cvt_f32_f64_e32 v0, v[0:1]
	v_cvt_f32_f64_e32 v1, v[28:29]
	v_mul_f64 v[34:35], v[34:35], s[2:3]
	s_waitcnt vmcnt(1)
	v_mov_b32_e32 v14, v10
	s_waitcnt vmcnt(0)
	ds_read2_b64 v[8:11], v20 offset0:66 offset1:156
	v_mad_u64_u32 v[16:17], null, s10, v14, 0
	v_mov_b32_e32 v4, v17
	v_mad_u64_u32 v[4:5], null, s11, v14, v[4:5]
	ds_read2_b64 v[12:15], v25 offset0:163 offset1:253
	ds_read2_b64 v[24:27], v24 offset0:132 offset1:222
	s_waitcnt lgkmcnt(2)
	v_mul_f32_e32 v20, v235, v9
	v_mov_b32_e32 v5, v33
	v_mul_f32_e32 v28, v235, v8
	v_mov_b32_e32 v17, v4
	v_fmac_f32_e32 v20, v234, v8
	v_mad_u64_u32 v[36:37], null, s9, v237, v[5:6]
	v_mul_f64 v[4:5], v[30:31], s[2:3]
	v_fma_f32 v28, v234, v9, -v28
	v_cvt_f64_f32_e32 v[8:9], v20
	v_mov_b32_e32 v33, v36
	v_cvt_f64_f32_e32 v[36:37], v28
	s_waitcnt lgkmcnt(1)
	v_mul_f32_e32 v20, v231, v13
	s_waitcnt lgkmcnt(0)
	v_mul_f32_e32 v30, v255, v25
	v_mul_f32_e32 v29, v231, v12
	;; [unrolled: 1-line block ×3, first 2 shown]
	v_fmac_f32_e32 v20, v230, v12
	v_fmac_f32_e32 v30, v254, v24
	v_fma_f32 v29, v230, v13, -v29
	v_lshlrev_b64 v[12:13], 3, v[16:17]
	v_fma_f32 v40, v254, v25, -v28
	v_cvt_f64_f32_e32 v[16:17], v20
	v_cvt_f64_f32_e32 v[38:39], v30
	;; [unrolled: 1-line block ×3, first 2 shown]
	v_cvt_f32_f64_e32 v4, v[4:5]
	v_cvt_f32_f64_e32 v5, v[34:35]
	v_mul_f64 v[8:9], v[8:9], s[2:3]
	v_add_co_u32 v20, s0, s6, v12
	ds_read2_b64 v[28:31], v23 offset0:101 offset1:191
	v_mul_f64 v[36:37], v[36:37], s[2:3]
	v_add_co_ci_u32_e64 v23, s0, s7, v13, s0
	v_lshlrev_b64 v[12:13], 3, v[32:33]
	s_mul_i32 s0, s9, 0xe1
	s_clause 0x1
	buffer_load_dword v48, off, s[16:19], 0 offset:152
	buffer_load_dword v49, off, s[16:19], 0 offset:156
	s_add_i32 s5, s1, s0
	ds_read2_b64 v[32:35], v21 offset0:39 offset1:129
	s_lshl_b64 s[4:5], s[4:5], 3
	v_add_co_u32 v12, s0, v20, v12
	v_add_co_ci_u32_e64 v13, s0, v23, v13, s0
	v_mul_f64 v[16:17], v[16:17], s[2:3]
	v_mul_f64 v[44:45], v[38:39], s[2:3]
	v_add_co_u32 v46, s0, v12, s4
	v_add_co_ci_u32_e64 v47, s0, s5, v13, s0
	v_mul_f64 v[42:43], v[24:25], s[2:3]
	ds_read2_b64 v[22:25], v22 offset0:70 offset1:160
	global_store_dwordx2 v[12:13], v[0:1], off
	global_store_dwordx2 v[46:47], v[4:5], off
	v_cvt_f32_f64_e32 v0, v[8:9]
	v_cvt_f32_f64_e32 v1, v[36:37]
	ds_read2_b64 v[36:39], v19 offset0:8 offset1:98
	v_cvt_f64_f32_e32 v[40:41], v40
	v_add_co_u32 v4, s0, v46, s4
	v_add_co_ci_u32_e64 v5, s0, s5, v47, s0
	s_mul_i32 s1, s9, 0xfffff871
	v_cvt_f32_f64_e32 v8, v[16:17]
	ds_read2_b64 v[16:19], v18 offset0:105 offset1:195
	v_cvt_f32_f64_e32 v12, v[44:45]
	s_clause 0x1
	buffer_load_dword v44, off, s[16:19], 0 offset:144
	buffer_load_dword v45, off, s[16:19], 0 offset:148
	v_cvt_f32_f64_e32 v9, v[42:43]
	v_mul_f64 v[40:41], v[40:41], s[2:3]
	s_waitcnt lgkmcnt(0)
	v_mul_f32_e32 v47, v249, v16
	s_waitcnt vmcnt(2)
	v_mul_f32_e32 v20, v49, v29
	v_mul_f32_e32 v13, v49, v28
	v_fmac_f32_e32 v20, v48, v28
	v_fma_f32 v28, v48, v29, -v13
	v_cvt_f32_f64_e32 v13, v[40:41]
	v_cvt_f64_f32_e32 v[20:21], v20
	v_cvt_f64_f32_e32 v[28:29], v28
	v_mul_f64 v[20:21], v[20:21], s[2:3]
	s_waitcnt vmcnt(0)
	v_mul_f32_e32 v42, v45, v23
	v_mul_f32_e32 v40, v45, v22
	s_clause 0x3
	buffer_load_dword v45, off, s[16:19], 0 offset:128
	buffer_load_dword v46, off, s[16:19], 0 offset:132
	;; [unrolled: 1-line block ×4, first 2 shown]
	global_store_dwordx2 v[4:5], v[0:1], off
	v_fmac_f32_e32 v42, v44, v22
	v_fma_f32 v40, v44, v23, -v40
	v_add_co_u32 v4, s0, v4, s4
	v_add_co_ci_u32_e64 v5, s0, s5, v5, s0
	v_cvt_f64_f32_e32 v[22:23], v42
	v_cvt_f64_f32_e32 v[40:41], v40
	global_store_dwordx2 v[4:5], v[8:9], off
	v_mul_f64 v[22:23], v[22:23], s[2:3]
	v_mul_f64 v[40:41], v[40:41], s[2:3]
	v_cvt_f32_f64_e32 v22, v[22:23]
	v_cvt_f32_f64_e32 v23, v[40:41]
	s_waitcnt vmcnt(2)
	v_mul_f32_e32 v43, v46, v33
	s_waitcnt vmcnt(0)
	v_mul_f32_e32 v44, v49, v37
	v_fmac_f32_e32 v43, v45, v32
	v_mul_f32_e32 v32, v46, v32
	v_fmac_f32_e32 v44, v48, v36
	v_mul_f32_e32 v46, v249, v17
	v_cvt_f64_f32_e32 v[42:43], v43
	v_fma_f32 v32, v45, v33, -v32
	v_mul_f32_e32 v45, v49, v36
	v_fmac_f32_e32 v46, v248, v16
	v_cvt_f64_f32_e32 v[32:33], v32
	v_fma_f32 v45, v48, v37, -v45
	v_cvt_f64_f32_e32 v[36:37], v44
	v_fma_f32 v44, v248, v17, -v47
	v_mul_f64 v[16:17], v[28:29], s[2:3]
	v_cvt_f64_f32_e32 v[28:29], v46
	v_cvt_f64_f32_e32 v[0:1], v45
	s_clause 0x1
	buffer_load_dword v48, off, s[16:19], 0 offset:220
	buffer_load_dword v49, off, s[16:19], 0 offset:224
	v_cvt_f64_f32_e32 v[44:45], v44
	v_add_co_u32 v46, s0, v4, s4
	v_add_co_ci_u32_e64 v47, s0, s5, v5, s0
	global_store_dwordx2 v[46:47], v[12:13], off
	v_mul_f64 v[4:5], v[42:43], s[2:3]
	v_cvt_f32_f64_e32 v12, v[20:21]
	v_mul_f64 v[8:9], v[32:33], s[2:3]
	v_mul_f64 v[20:21], v[36:37], s[2:3]
	v_add_co_u32 v36, s0, v46, s4
	v_cvt_f32_f64_e32 v13, v[16:17]
	v_mul_f64 v[16:17], v[28:29], s[2:3]
	v_mul_f64 v[0:1], v[0:1], s[2:3]
	;; [unrolled: 1-line block ×3, first 2 shown]
	s_clause 0x1
	buffer_load_dword v43, off, s[16:19], 0 offset:168
	buffer_load_dword v44, off, s[16:19], 0 offset:172
	v_add_co_ci_u32_e64 v37, s0, s5, v47, s0
	v_add_co_u32 v40, s0, v36, s4
	v_add_co_ci_u32_e64 v41, s0, s5, v37, s0
	v_cvt_f32_f64_e32 v4, v[4:5]
	v_cvt_f32_f64_e32 v5, v[8:9]
	global_store_dwordx2 v[36:37], v[12:13], off
	global_store_dwordx2 v[40:41], v[22:23], off
	s_waitcnt vmcnt(2)
	v_mul_f32_e32 v42, v49, v3
	v_fmac_f32_e32 v42, v48, v2
	v_mul_f32_e32 v2, v49, v2
	v_cvt_f64_f32_e32 v[32:33], v42
	v_fma_f32 v8, v48, v3, -v2
	v_cvt_f32_f64_e32 v2, v[20:21]
	v_cvt_f32_f64_e32 v3, v[0:1]
	v_cvt_f64_f32_e32 v[0:1], v8
	s_waitcnt vmcnt(0)
	v_mul_f32_e32 v9, v44, v6
	v_mul_f32_e32 v42, v44, v7
	v_fma_f32 v20, v43, v7, -v9
	v_cvt_f32_f64_e32 v7, v[28:29]
	v_add_co_u32 v28, s0, v40, s4
	v_add_co_ci_u32_e64 v29, s0, s5, v41, s0
	v_fmac_f32_e32 v42, v43, v6
	v_add_co_u32 v12, s0, v28, s4
	v_add_co_ci_u32_e64 v13, s0, s5, v29, s0
	global_store_dwordx2 v[28:29], v[4:5], off
	global_store_dwordx2 v[12:13], v[2:3], off
	s_clause 0x1
	buffer_load_dword v28, off, s[16:19], 0 offset:112
	buffer_load_dword v29, off, s[16:19], 0 offset:116
	v_cvt_f32_f64_e32 v6, v[16:17]
	v_mul_f64 v[8:9], v[32:33], s[2:3]
	v_cvt_f64_f32_e32 v[16:17], v42
	v_cvt_f64_f32_e32 v[20:21], v20
	v_add_co_u32 v22, s0, v12, s4
	v_add_co_ci_u32_e64 v23, s0, s5, v13, s0
	v_mul_f64 v[0:1], v[0:1], s[2:3]
	s_mul_hi_u32 s0, s8, 0xfffff871
	s_sub_i32 s0, s0, s8
	s_add_i32 s1, s0, s1
	s_mul_i32 s0, s8, 0xfffff871
	s_lshl_b64 s[6:7], s[0:1], 3
	global_store_dwordx2 v[22:23], v[6:7], off
	v_cvt_f32_f64_e32 v2, v[8:9]
	v_mul_f64 v[4:5], v[16:17], s[2:3]
	v_mul_f64 v[6:7], v[20:21], s[2:3]
	s_clause 0x3
	buffer_load_dword v16, off, s[16:19], 0 offset:136
	buffer_load_dword v17, off, s[16:19], 0 offset:140
	buffer_load_dword v20, off, s[16:19], 0 offset:104
	buffer_load_dword v21, off, s[16:19], 0 offset:108
	v_cvt_f32_f64_e32 v4, v[4:5]
	v_cvt_f32_f64_e32 v5, v[6:7]
	s_waitcnt vmcnt(4)
	v_mul_f32_e32 v3, v29, v11
	v_fmac_f32_e32 v3, v28, v10
	v_mul_f32_e32 v10, v29, v10
	v_cvt_f64_f32_e32 v[8:9], v3
	v_fma_f32 v3, v28, v11, -v10
	s_clause 0x7
	buffer_load_dword v28, off, s[16:19], 0 offset:96
	buffer_load_dword v29, off, s[16:19], 0 offset:100
	;; [unrolled: 1-line block ×8, first 2 shown]
	v_cvt_f64_f32_e32 v[10:11], v3
	v_cvt_f32_f64_e32 v3, v[0:1]
	v_add_co_u32 v0, s0, v22, s6
	v_add_co_ci_u32_e64 v1, s0, s7, v23, s0
	v_add_co_u32 v6, s0, v0, s4
	v_add_co_ci_u32_e64 v7, s0, s5, v1, s0
	s_waitcnt vmcnt(10)
	v_mul_f32_e32 v12, v17, v15
	v_mul_f32_e32 v13, v17, v14
	s_waitcnt vmcnt(8)
	v_mul_f32_e32 v17, v21, v26
	v_fmac_f32_e32 v12, v16, v14
	v_fma_f32 v14, v16, v15, -v13
	v_mul_f32_e32 v16, v21, v27
	v_mul_f64 v[8:9], v[8:9], s[2:3]
	v_cvt_f64_f32_e32 v[12:13], v12
	v_cvt_f64_f32_e32 v[14:15], v14
	v_fmac_f32_e32 v16, v20, v26
	v_fma_f32 v20, v20, v27, -v17
	v_mul_f64 v[10:11], v[10:11], s[2:3]
	v_cvt_f64_f32_e32 v[16:17], v16
	v_cvt_f64_f32_e32 v[20:21], v20
	v_mul_f64 v[12:13], v[12:13], s[2:3]
	v_mul_f64 v[14:15], v[14:15], s[2:3]
	v_cvt_f32_f64_e32 v12, v[12:13]
	v_cvt_f32_f64_e32 v13, v[14:15]
	s_waitcnt vmcnt(6)
	v_mul_f32_e32 v22, v29, v31
	v_mul_f32_e32 v23, v29, v30
	s_waitcnt vmcnt(2)
	v_mul_f32_e32 v32, v43, v35
	v_mul_f32_e32 v26, v37, v25
	v_mul_f32_e32 v27, v37, v24
	v_fmac_f32_e32 v22, v28, v30
	v_fma_f32 v28, v28, v31, -v23
	v_fmac_f32_e32 v32, v42, v34
	s_waitcnt vmcnt(0)
	v_mul_f32_e32 v33, v41, v39
	v_fmac_f32_e32 v26, v36, v24
	v_fma_f32 v29, v36, v25, -v27
	v_cvt_f64_f32_e32 v[22:23], v22
	v_cvt_f64_f32_e32 v[30:31], v32
	v_mul_f32_e32 v32, v43, v34
	s_clause 0x1
	buffer_load_dword v43, off, s[16:19], 0 offset:80
	buffer_load_dword v44, off, s[16:19], 0 offset:84
	v_mul_f32_e32 v34, v41, v38
	v_cvt_f64_f32_e32 v[24:25], v28
	v_fmac_f32_e32 v33, v40, v38
	v_fma_f32 v32, v42, v35, -v32
	v_cvt_f64_f32_e32 v[26:27], v26
	v_fma_f32 v34, v40, v39, -v34
	v_cvt_f64_f32_e32 v[28:29], v29
	global_store_dwordx2 v[0:1], v[2:3], off
	global_store_dwordx2 v[6:7], v[4:5], off
	v_mul_f64 v[2:3], v[16:17], s[2:3]
	v_mul_f64 v[4:5], v[20:21], s[2:3]
	v_cvt_f64_f32_e32 v[34:35], v34
	v_cvt_f32_f64_e32 v0, v[8:9]
	v_cvt_f32_f64_e32 v1, v[10:11]
	v_add_co_u32 v6, s0, v6, s4
	v_add_co_ci_u32_e64 v7, s0, s5, v7, s0
	v_mul_f64 v[8:9], v[22:23], s[2:3]
	v_mul_f64 v[20:21], v[30:31], s[2:3]
	v_add_co_u32 v30, s0, v6, s4
	v_add_co_ci_u32_e64 v31, s0, s5, v7, s0
	v_mul_f64 v[10:11], v[24:25], s[2:3]
	v_mul_f64 v[14:15], v[26:27], s[2:3]
	;; [unrolled: 1-line block ×3, first 2 shown]
	v_cvt_f32_f64_e32 v2, v[2:3]
	v_cvt_f32_f64_e32 v3, v[4:5]
	v_mul_f64 v[24:25], v[34:35], s[2:3]
	v_add_co_u32 v4, s0, v30, s4
	v_add_co_ci_u32_e64 v5, s0, s5, v31, s0
	global_store_dwordx2 v[6:7], v[0:1], off
	global_store_dwordx2 v[30:31], v[12:13], off
	v_cvt_f32_f64_e32 v8, v[8:9]
	v_cvt_f32_f64_e32 v9, v[10:11]
	v_add_co_u32 v10, s0, v4, s4
	v_add_co_ci_u32_e64 v11, s0, s5, v5, s0
	v_cvt_f32_f64_e32 v14, v[14:15]
	v_cvt_f32_f64_e32 v15, v[16:17]
	;; [unrolled: 1-line block ×3, first 2 shown]
	global_store_dwordx2 v[4:5], v[2:3], off
	s_waitcnt vmcnt(0)
	v_mul_f32_e32 v36, v44, v19
	v_mul_f32_e32 v37, v44, v18
	v_fmac_f32_e32 v36, v43, v18
	v_fma_f32 v38, v43, v19, -v37
	v_cvt_f64_f32_e32 v[18:19], v32
	v_cvt_f64_f32_e32 v[32:33], v33
	;; [unrolled: 1-line block ×4, first 2 shown]
	v_mul_f64 v[18:19], v[18:19], s[2:3]
	v_mul_f64 v[22:23], v[32:33], s[2:3]
	v_mul_f64 v[26:27], v[36:37], s[2:3]
	v_mul_f64 v[28:29], v[38:39], s[2:3]
	v_cvt_f32_f64_e32 v17, v[18:19]
	v_cvt_f32_f64_e32 v18, v[22:23]
	v_add_co_u32 v22, s0, v10, s4
	v_add_co_ci_u32_e64 v23, s0, s5, v11, s0
	v_cvt_f32_f64_e32 v19, v[24:25]
	v_cvt_f32_f64_e32 v20, v[26:27]
	;; [unrolled: 1-line block ×3, first 2 shown]
	v_add_co_u32 v6, s0, v22, s4
	v_add_co_ci_u32_e64 v7, s0, s5, v23, s0
	v_add_co_u32 v12, s0, v6, s4
	v_add_co_ci_u32_e64 v13, s0, s5, v7, s0
	v_add_co_u32 v0, s0, v12, s4
	v_add_co_ci_u32_e64 v1, s0, s5, v13, s0
	global_store_dwordx2 v[10:11], v[8:9], off
	global_store_dwordx2 v[22:23], v[14:15], off
	;; [unrolled: 1-line block ×5, first 2 shown]
	s_and_b32 exec_lo, exec_lo, vcc_lo
	s_cbranch_execz .LBB0_31
; %bb.30:
	global_load_dwordx2 v[6:7], v[238:239], off offset:1440
	v_add_nc_u32_e32 v2, 0x500, v236
	v_add_co_u32 v0, vcc_lo, v0, s6
	v_add_co_ci_u32_e32 v1, vcc_lo, s7, v1, vcc_lo
	ds_read2_b64 v[2:5], v2 offset0:20 offset1:245
	s_waitcnt vmcnt(0) lgkmcnt(0)
	v_mul_f32_e32 v8, v3, v7
	v_mul_f32_e32 v7, v2, v7
	v_fmac_f32_e32 v8, v2, v6
	v_fma_f32 v6, v6, v3, -v7
	v_cvt_f64_f32_e32 v[2:3], v8
	v_cvt_f64_f32_e32 v[6:7], v6
	v_mul_f64 v[2:3], v[2:3], s[2:3]
	v_mul_f64 v[6:7], v[6:7], s[2:3]
	v_cvt_f32_f64_e32 v2, v[2:3]
	v_cvt_f32_f64_e32 v3, v[6:7]
	global_store_dwordx2 v[0:1], v[2:3], off
	s_clause 0x1
	buffer_load_dword v2, off, s[16:19], 0 offset:56
	buffer_load_dword v3, off, s[16:19], 0 offset:60
	s_waitcnt vmcnt(0)
	global_load_dwordx2 v[2:3], v[2:3], off offset:1192
	s_waitcnt vmcnt(0)
	v_mul_f32_e32 v6, v5, v3
	v_mul_f32_e32 v3, v4, v3
	v_fmac_f32_e32 v6, v4, v2
	v_fma_f32 v4, v2, v5, -v3
	v_cvt_f64_f32_e32 v[2:3], v6
	v_cvt_f64_f32_e32 v[4:5], v4
	v_mul_f64 v[2:3], v[2:3], s[2:3]
	v_mul_f64 v[4:5], v[4:5], s[2:3]
	v_cvt_f32_f64_e32 v2, v[2:3]
	v_cvt_f32_f64_e32 v3, v[4:5]
	v_add_co_u32 v4, vcc_lo, v0, s4
	v_add_co_ci_u32_e32 v5, vcc_lo, s5, v1, vcc_lo
	global_store_dwordx2 v[4:5], v[2:3], off
	s_clause 0x1
	buffer_load_dword v0, off, s[16:19], 0 offset:48
	buffer_load_dword v1, off, s[16:19], 0 offset:52
	v_add_co_u32 v4, vcc_lo, v4, s4
	v_add_co_ci_u32_e32 v5, vcc_lo, s5, v5, vcc_lo
	s_waitcnt vmcnt(0)
	global_load_dwordx2 v[6:7], v[0:1], off offset:944
	v_add_nc_u32_e32 v0, 0x1300, v236
	ds_read2_b64 v[0:3], v0 offset0:22 offset1:247
	s_waitcnt vmcnt(0) lgkmcnt(0)
	v_mul_f32_e32 v8, v1, v7
	v_mul_f32_e32 v7, v0, v7
	v_fmac_f32_e32 v8, v0, v6
	v_fma_f32 v6, v6, v1, -v7
	v_cvt_f64_f32_e32 v[0:1], v8
	v_cvt_f64_f32_e32 v[6:7], v6
	v_mul_f64 v[0:1], v[0:1], s[2:3]
	v_mul_f64 v[6:7], v[6:7], s[2:3]
	v_cvt_f32_f64_e32 v0, v[0:1]
	v_cvt_f32_f64_e32 v1, v[6:7]
	global_store_dwordx2 v[4:5], v[0:1], off
	s_clause 0x1
	buffer_load_dword v0, off, s[16:19], 0 offset:40
	buffer_load_dword v1, off, s[16:19], 0 offset:44
	v_add_co_u32 v4, vcc_lo, v4, s4
	v_add_co_ci_u32_e32 v5, vcc_lo, s5, v5, vcc_lo
	s_waitcnt vmcnt(0)
	global_load_dwordx2 v[0:1], v[0:1], off offset:696
	s_waitcnt vmcnt(0)
	v_mul_f32_e32 v6, v3, v1
	v_mul_f32_e32 v1, v2, v1
	v_fmac_f32_e32 v6, v2, v0
	v_fma_f32 v2, v0, v3, -v1
	v_cvt_f64_f32_e32 v[0:1], v6
	v_cvt_f64_f32_e32 v[2:3], v2
	v_mul_f64 v[0:1], v[0:1], s[2:3]
	v_mul_f64 v[2:3], v[2:3], s[2:3]
	v_cvt_f32_f64_e32 v0, v[0:1]
	v_cvt_f32_f64_e32 v1, v[2:3]
	global_store_dwordx2 v[4:5], v[0:1], off
	s_clause 0x1
	buffer_load_dword v0, off, s[16:19], 0 offset:32
	buffer_load_dword v1, off, s[16:19], 0 offset:36
	v_add_co_u32 v4, vcc_lo, v4, s4
	v_add_co_ci_u32_e32 v5, vcc_lo, s5, v5, vcc_lo
	s_waitcnt vmcnt(0)
	global_load_dwordx2 v[6:7], v[0:1], off offset:448
	v_add_nc_u32_e32 v0, 0x2100, v236
	ds_read2_b64 v[0:3], v0 offset0:24 offset1:249
	s_waitcnt vmcnt(0) lgkmcnt(0)
	v_mul_f32_e32 v8, v1, v7
	v_mul_f32_e32 v7, v0, v7
	v_fmac_f32_e32 v8, v0, v6
	v_fma_f32 v6, v6, v1, -v7
	v_cvt_f64_f32_e32 v[0:1], v8
	v_cvt_f64_f32_e32 v[6:7], v6
	v_mul_f64 v[0:1], v[0:1], s[2:3]
	v_mul_f64 v[6:7], v[6:7], s[2:3]
	v_cvt_f32_f64_e32 v0, v[0:1]
	v_cvt_f32_f64_e32 v1, v[6:7]
	global_store_dwordx2 v[4:5], v[0:1], off
	s_clause 0x1
	buffer_load_dword v7, off, s[16:19], 0 offset:24
	buffer_load_dword v8, off, s[16:19], 0 offset:28
	v_add_co_u32 v4, vcc_lo, v4, s4
	v_add_co_ci_u32_e32 v5, vcc_lo, s5, v5, vcc_lo
	s_waitcnt vmcnt(0)
	global_load_dwordx2 v[0:1], v[7:8], off offset:200
	s_waitcnt vmcnt(0)
	v_mul_f32_e32 v6, v3, v1
	v_mul_f32_e32 v1, v2, v1
	v_fmac_f32_e32 v6, v2, v0
	v_fma_f32 v2, v0, v3, -v1
	v_cvt_f64_f32_e32 v[0:1], v6
	v_cvt_f64_f32_e32 v[2:3], v2
	v_mul_f64 v[0:1], v[0:1], s[2:3]
	v_mul_f64 v[2:3], v[2:3], s[2:3]
	v_cvt_f32_f64_e32 v0, v[0:1]
	v_cvt_f32_f64_e32 v1, v[2:3]
	global_store_dwordx2 v[4:5], v[0:1], off
	global_load_dwordx2 v[6:7], v[7:8], off offset:2000
	v_add_nc_u32_e32 v0, 0x2f00, v236
	v_add_co_u32 v4, vcc_lo, v4, s4
	v_add_co_ci_u32_e32 v5, vcc_lo, s5, v5, vcc_lo
	ds_read2_b64 v[0:3], v0 offset0:26 offset1:251
	s_waitcnt vmcnt(0) lgkmcnt(0)
	v_mul_f32_e32 v8, v1, v7
	v_mul_f32_e32 v7, v0, v7
	v_fmac_f32_e32 v8, v0, v6
	v_fma_f32 v6, v6, v1, -v7
	v_cvt_f64_f32_e32 v[0:1], v8
	v_cvt_f64_f32_e32 v[6:7], v6
	v_mul_f64 v[0:1], v[0:1], s[2:3]
	v_mul_f64 v[6:7], v[6:7], s[2:3]
	v_cvt_f32_f64_e32 v0, v[0:1]
	v_cvt_f32_f64_e32 v1, v[6:7]
	global_store_dwordx2 v[4:5], v[0:1], off
	s_clause 0x1
	buffer_load_dword v0, off, s[16:19], 0 offset:16
	buffer_load_dword v1, off, s[16:19], 0 offset:20
	v_add_co_u32 v4, vcc_lo, v4, s4
	v_add_co_ci_u32_e32 v5, vcc_lo, s5, v5, vcc_lo
	s_waitcnt vmcnt(0)
	global_load_dwordx2 v[0:1], v[0:1], off offset:1752
	s_waitcnt vmcnt(0)
	v_mul_f32_e32 v6, v3, v1
	v_mul_f32_e32 v1, v2, v1
	v_fmac_f32_e32 v6, v2, v0
	v_fma_f32 v2, v0, v3, -v1
	v_cvt_f64_f32_e32 v[0:1], v6
	v_cvt_f64_f32_e32 v[2:3], v2
	v_mul_f64 v[0:1], v[0:1], s[2:3]
	v_mul_f64 v[2:3], v[2:3], s[2:3]
	v_cvt_f32_f64_e32 v0, v[0:1]
	v_cvt_f32_f64_e32 v1, v[2:3]
	global_store_dwordx2 v[4:5], v[0:1], off
	s_clause 0x1
	buffer_load_dword v0, off, s[16:19], 0 offset:8
	buffer_load_dword v1, off, s[16:19], 0 offset:12
	v_add_co_u32 v4, vcc_lo, v4, s4
	v_add_co_ci_u32_e32 v5, vcc_lo, s5, v5, vcc_lo
	s_waitcnt vmcnt(0)
	global_load_dwordx2 v[6:7], v[0:1], off offset:1504
	v_add_nc_u32_e32 v0, 0x3d00, v236
	ds_read2_b64 v[0:3], v0 offset0:28 offset1:253
	s_waitcnt vmcnt(0) lgkmcnt(0)
	v_mul_f32_e32 v8, v1, v7
	v_mul_f32_e32 v7, v0, v7
	v_fmac_f32_e32 v8, v0, v6
	v_fma_f32 v6, v6, v1, -v7
	v_cvt_f64_f32_e32 v[0:1], v8
	v_cvt_f64_f32_e32 v[6:7], v6
	v_mul_f64 v[0:1], v[0:1], s[2:3]
	v_mul_f64 v[6:7], v[6:7], s[2:3]
	v_cvt_f32_f64_e32 v0, v[0:1]
	v_cvt_f32_f64_e32 v1, v[6:7]
	global_store_dwordx2 v[4:5], v[0:1], off
	s_clause 0x1
	buffer_load_dword v0, off, s[16:19], 0
	buffer_load_dword v1, off, s[16:19], 0 offset:4
	s_waitcnt vmcnt(0)
	global_load_dwordx2 v[0:1], v[0:1], off offset:1256
	s_waitcnt vmcnt(0)
	v_mul_f32_e32 v6, v3, v1
	v_mul_f32_e32 v1, v2, v1
	v_fmac_f32_e32 v6, v2, v0
	v_fma_f32 v2, v0, v3, -v1
	v_cvt_f64_f32_e32 v[0:1], v6
	v_cvt_f64_f32_e32 v[2:3], v2
	v_mul_f64 v[0:1], v[0:1], s[2:3]
	v_mul_f64 v[2:3], v[2:3], s[2:3]
	v_cvt_f32_f64_e32 v0, v[0:1]
	v_cvt_f32_f64_e32 v1, v[2:3]
	v_add_co_u32 v2, vcc_lo, v4, s4
	v_add_co_ci_u32_e32 v3, vcc_lo, s5, v5, vcc_lo
	global_store_dwordx2 v[2:3], v[0:1], off
.LBB0_31:
	s_endpgm
	.section	.rodata,"a",@progbits
	.p2align	6, 0x0
	.amdhsa_kernel bluestein_single_back_len2250_dim1_sp_op_CI_CI
		.amdhsa_group_segment_fixed_size 18000
		.amdhsa_private_segment_fixed_size 280
		.amdhsa_kernarg_size 104
		.amdhsa_user_sgpr_count 6
		.amdhsa_user_sgpr_private_segment_buffer 1
		.amdhsa_user_sgpr_dispatch_ptr 0
		.amdhsa_user_sgpr_queue_ptr 0
		.amdhsa_user_sgpr_kernarg_segment_ptr 1
		.amdhsa_user_sgpr_dispatch_id 0
		.amdhsa_user_sgpr_flat_scratch_init 0
		.amdhsa_user_sgpr_private_segment_size 0
		.amdhsa_wavefront_size32 1
		.amdhsa_uses_dynamic_stack 0
		.amdhsa_system_sgpr_private_segment_wavefront_offset 1
		.amdhsa_system_sgpr_workgroup_id_x 1
		.amdhsa_system_sgpr_workgroup_id_y 0
		.amdhsa_system_sgpr_workgroup_id_z 0
		.amdhsa_system_sgpr_workgroup_info 0
		.amdhsa_system_vgpr_workitem_id 0
		.amdhsa_next_free_vgpr 256
		.amdhsa_next_free_sgpr 20
		.amdhsa_reserve_vcc 1
		.amdhsa_reserve_flat_scratch 0
		.amdhsa_float_round_mode_32 0
		.amdhsa_float_round_mode_16_64 0
		.amdhsa_float_denorm_mode_32 3
		.amdhsa_float_denorm_mode_16_64 3
		.amdhsa_dx10_clamp 1
		.amdhsa_ieee_mode 1
		.amdhsa_fp16_overflow 0
		.amdhsa_workgroup_processor_mode 1
		.amdhsa_memory_ordered 1
		.amdhsa_forward_progress 0
		.amdhsa_shared_vgpr_count 0
		.amdhsa_exception_fp_ieee_invalid_op 0
		.amdhsa_exception_fp_denorm_src 0
		.amdhsa_exception_fp_ieee_div_zero 0
		.amdhsa_exception_fp_ieee_overflow 0
		.amdhsa_exception_fp_ieee_underflow 0
		.amdhsa_exception_fp_ieee_inexact 0
		.amdhsa_exception_int_div_zero 0
	.end_amdhsa_kernel
	.text
.Lfunc_end0:
	.size	bluestein_single_back_len2250_dim1_sp_op_CI_CI, .Lfunc_end0-bluestein_single_back_len2250_dim1_sp_op_CI_CI
                                        ; -- End function
	.section	.AMDGPU.csdata,"",@progbits
; Kernel info:
; codeLenInByte = 32468
; NumSgprs: 22
; NumVgprs: 256
; ScratchSize: 280
; MemoryBound: 0
; FloatMode: 240
; IeeeMode: 1
; LDSByteSize: 18000 bytes/workgroup (compile time only)
; SGPRBlocks: 2
; VGPRBlocks: 31
; NumSGPRsForWavesPerEU: 22
; NumVGPRsForWavesPerEU: 256
; Occupancy: 4
; WaveLimiterHint : 1
; COMPUTE_PGM_RSRC2:SCRATCH_EN: 1
; COMPUTE_PGM_RSRC2:USER_SGPR: 6
; COMPUTE_PGM_RSRC2:TRAP_HANDLER: 0
; COMPUTE_PGM_RSRC2:TGID_X_EN: 1
; COMPUTE_PGM_RSRC2:TGID_Y_EN: 0
; COMPUTE_PGM_RSRC2:TGID_Z_EN: 0
; COMPUTE_PGM_RSRC2:TIDIG_COMP_CNT: 0
	.text
	.p2alignl 6, 3214868480
	.fill 48, 4, 3214868480
	.type	__hip_cuid_935322017506250e,@object ; @__hip_cuid_935322017506250e
	.section	.bss,"aw",@nobits
	.globl	__hip_cuid_935322017506250e
__hip_cuid_935322017506250e:
	.byte	0                               ; 0x0
	.size	__hip_cuid_935322017506250e, 1

	.ident	"AMD clang version 19.0.0git (https://github.com/RadeonOpenCompute/llvm-project roc-6.4.0 25133 c7fe45cf4b819c5991fe208aaa96edf142730f1d)"
	.section	".note.GNU-stack","",@progbits
	.addrsig
	.addrsig_sym __hip_cuid_935322017506250e
	.amdgpu_metadata
---
amdhsa.kernels:
  - .args:
      - .actual_access:  read_only
        .address_space:  global
        .offset:         0
        .size:           8
        .value_kind:     global_buffer
      - .actual_access:  read_only
        .address_space:  global
        .offset:         8
        .size:           8
        .value_kind:     global_buffer
      - .actual_access:  read_only
        .address_space:  global
        .offset:         16
        .size:           8
        .value_kind:     global_buffer
      - .actual_access:  read_only
        .address_space:  global
        .offset:         24
        .size:           8
        .value_kind:     global_buffer
      - .actual_access:  read_only
        .address_space:  global
        .offset:         32
        .size:           8
        .value_kind:     global_buffer
      - .offset:         40
        .size:           8
        .value_kind:     by_value
      - .address_space:  global
        .offset:         48
        .size:           8
        .value_kind:     global_buffer
      - .address_space:  global
        .offset:         56
        .size:           8
        .value_kind:     global_buffer
      - .address_space:  global
        .offset:         64
        .size:           8
        .value_kind:     global_buffer
      - .address_space:  global
        .offset:         72
        .size:           8
        .value_kind:     global_buffer
      - .offset:         80
        .size:           4
        .value_kind:     by_value
      - .address_space:  global
        .offset:         88
        .size:           8
        .value_kind:     global_buffer
      - .address_space:  global
        .offset:         96
        .size:           8
        .value_kind:     global_buffer
    .group_segment_fixed_size: 18000
    .kernarg_segment_align: 8
    .kernarg_segment_size: 104
    .language:       OpenCL C
    .language_version:
      - 2
      - 0
    .max_flat_workgroup_size: 90
    .name:           bluestein_single_back_len2250_dim1_sp_op_CI_CI
    .private_segment_fixed_size: 280
    .sgpr_count:     22
    .sgpr_spill_count: 0
    .symbol:         bluestein_single_back_len2250_dim1_sp_op_CI_CI.kd
    .uniform_work_group_size: 1
    .uses_dynamic_stack: false
    .vgpr_count:     256
    .vgpr_spill_count: 69
    .wavefront_size: 32
    .workgroup_processor_mode: 1
amdhsa.target:   amdgcn-amd-amdhsa--gfx1030
amdhsa.version:
  - 1
  - 2
...

	.end_amdgpu_metadata
